;; amdgpu-corpus repo=ROCm/rocFFT kind=compiled arch=gfx1201 opt=O3
	.text
	.amdgcn_target "amdgcn-amd-amdhsa--gfx1201"
	.amdhsa_code_object_version 6
	.protected	fft_rtc_fwd_len3456_factors_6_6_6_4_4_wgs_144_tpt_144_halfLds_dp_op_CI_CI_unitstride_sbrr_C2R_dirReg ; -- Begin function fft_rtc_fwd_len3456_factors_6_6_6_4_4_wgs_144_tpt_144_halfLds_dp_op_CI_CI_unitstride_sbrr_C2R_dirReg
	.globl	fft_rtc_fwd_len3456_factors_6_6_6_4_4_wgs_144_tpt_144_halfLds_dp_op_CI_CI_unitstride_sbrr_C2R_dirReg
	.p2align	8
	.type	fft_rtc_fwd_len3456_factors_6_6_6_4_4_wgs_144_tpt_144_halfLds_dp_op_CI_CI_unitstride_sbrr_C2R_dirReg,@function
fft_rtc_fwd_len3456_factors_6_6_6_4_4_wgs_144_tpt_144_halfLds_dp_op_CI_CI_unitstride_sbrr_C2R_dirReg: ; @fft_rtc_fwd_len3456_factors_6_6_6_4_4_wgs_144_tpt_144_halfLds_dp_op_CI_CI_unitstride_sbrr_C2R_dirReg
; %bb.0:
	s_clause 0x2
	s_load_b128 s[8:11], s[0:1], 0x0
	s_load_b128 s[4:7], s[0:1], 0x58
	;; [unrolled: 1-line block ×3, first 2 shown]
	v_mul_u32_u24_e32 v1, 0x1c8, v0
	v_mov_b32_e32 v3, 0
	s_delay_alu instid0(VALU_DEP_2) | instskip(NEXT) | instid1(VALU_DEP_1)
	v_lshrrev_b32_e32 v1, 16, v1
	v_add_nc_u32_e32 v5, ttmp9, v1
	v_mov_b32_e32 v1, 0
	v_mov_b32_e32 v2, 0
	;; [unrolled: 1-line block ×3, first 2 shown]
	s_wait_kmcnt 0x0
	v_cmp_lt_u64_e64 s2, s[10:11], 2
	s_delay_alu instid0(VALU_DEP_1)
	s_and_b32 vcc_lo, exec_lo, s2
	s_cbranch_vccnz .LBB0_8
; %bb.1:
	s_load_b64 s[2:3], s[0:1], 0x10
	v_mov_b32_e32 v1, 0
	v_mov_b32_e32 v2, 0
	s_add_nc_u64 s[16:17], s[14:15], 8
	s_add_nc_u64 s[18:19], s[12:13], 8
	s_mov_b64 s[20:21], 1
	s_delay_alu instid0(VALU_DEP_1)
	v_dual_mov_b32 v67, v2 :: v_dual_mov_b32 v66, v1
	s_wait_kmcnt 0x0
	s_add_nc_u64 s[22:23], s[2:3], 8
	s_mov_b32 s3, 0
.LBB0_2:                                ; =>This Inner Loop Header: Depth=1
	s_load_b64 s[24:25], s[22:23], 0x0
                                        ; implicit-def: $vgpr68_vgpr69
	s_mov_b32 s2, exec_lo
	s_wait_kmcnt 0x0
	v_or_b32_e32 v4, s25, v6
	s_delay_alu instid0(VALU_DEP_1)
	v_cmpx_ne_u64_e32 0, v[3:4]
	s_wait_alu 0xfffe
	s_xor_b32 s26, exec_lo, s2
	s_cbranch_execz .LBB0_4
; %bb.3:                                ;   in Loop: Header=BB0_2 Depth=1
	s_cvt_f32_u32 s2, s24
	s_cvt_f32_u32 s27, s25
	s_sub_nc_u64 s[30:31], 0, s[24:25]
	s_wait_alu 0xfffe
	s_delay_alu instid0(SALU_CYCLE_1) | instskip(SKIP_1) | instid1(SALU_CYCLE_2)
	s_fmamk_f32 s2, s27, 0x4f800000, s2
	s_wait_alu 0xfffe
	v_s_rcp_f32 s2, s2
	s_delay_alu instid0(TRANS32_DEP_1) | instskip(SKIP_1) | instid1(SALU_CYCLE_2)
	s_mul_f32 s2, s2, 0x5f7ffffc
	s_wait_alu 0xfffe
	s_mul_f32 s27, s2, 0x2f800000
	s_wait_alu 0xfffe
	s_delay_alu instid0(SALU_CYCLE_2) | instskip(SKIP_1) | instid1(SALU_CYCLE_2)
	s_trunc_f32 s27, s27
	s_wait_alu 0xfffe
	s_fmamk_f32 s2, s27, 0xcf800000, s2
	s_cvt_u32_f32 s29, s27
	s_wait_alu 0xfffe
	s_delay_alu instid0(SALU_CYCLE_1) | instskip(SKIP_1) | instid1(SALU_CYCLE_2)
	s_cvt_u32_f32 s28, s2
	s_wait_alu 0xfffe
	s_mul_u64 s[34:35], s[30:31], s[28:29]
	s_wait_alu 0xfffe
	s_mul_hi_u32 s37, s28, s35
	s_mul_i32 s36, s28, s35
	s_mul_hi_u32 s2, s28, s34
	s_mul_i32 s33, s29, s34
	s_wait_alu 0xfffe
	s_add_nc_u64 s[36:37], s[2:3], s[36:37]
	s_mul_hi_u32 s27, s29, s34
	s_mul_hi_u32 s38, s29, s35
	s_add_co_u32 s2, s36, s33
	s_wait_alu 0xfffe
	s_add_co_ci_u32 s2, s37, s27
	s_mul_i32 s34, s29, s35
	s_add_co_ci_u32 s35, s38, 0
	s_wait_alu 0xfffe
	s_add_nc_u64 s[34:35], s[2:3], s[34:35]
	s_wait_alu 0xfffe
	v_add_co_u32 v4, s2, s28, s34
	s_delay_alu instid0(VALU_DEP_1) | instskip(SKIP_1) | instid1(VALU_DEP_1)
	s_cmp_lg_u32 s2, 0
	s_add_co_ci_u32 s29, s29, s35
	v_readfirstlane_b32 s28, v4
	s_wait_alu 0xfffe
	s_delay_alu instid0(VALU_DEP_1)
	s_mul_u64 s[30:31], s[30:31], s[28:29]
	s_wait_alu 0xfffe
	s_mul_hi_u32 s35, s28, s31
	s_mul_i32 s34, s28, s31
	s_mul_hi_u32 s2, s28, s30
	s_mul_i32 s33, s29, s30
	s_wait_alu 0xfffe
	s_add_nc_u64 s[34:35], s[2:3], s[34:35]
	s_mul_hi_u32 s27, s29, s30
	s_mul_hi_u32 s28, s29, s31
	s_wait_alu 0xfffe
	s_add_co_u32 s2, s34, s33
	s_add_co_ci_u32 s2, s35, s27
	s_mul_i32 s30, s29, s31
	s_add_co_ci_u32 s31, s28, 0
	s_wait_alu 0xfffe
	s_add_nc_u64 s[30:31], s[2:3], s[30:31]
	s_wait_alu 0xfffe
	v_add_co_u32 v4, s2, v4, s30
	s_delay_alu instid0(VALU_DEP_1) | instskip(SKIP_1) | instid1(VALU_DEP_1)
	s_cmp_lg_u32 s2, 0
	s_add_co_ci_u32 s2, s29, s31
	v_mul_hi_u32 v13, v5, v4
	s_wait_alu 0xfffe
	v_mad_co_u64_u32 v[7:8], null, v5, s2, 0
	v_mad_co_u64_u32 v[9:10], null, v6, v4, 0
	;; [unrolled: 1-line block ×3, first 2 shown]
	s_delay_alu instid0(VALU_DEP_3) | instskip(SKIP_1) | instid1(VALU_DEP_4)
	v_add_co_u32 v4, vcc_lo, v13, v7
	s_wait_alu 0xfffd
	v_add_co_ci_u32_e32 v7, vcc_lo, 0, v8, vcc_lo
	s_delay_alu instid0(VALU_DEP_2) | instskip(SKIP_1) | instid1(VALU_DEP_2)
	v_add_co_u32 v4, vcc_lo, v4, v9
	s_wait_alu 0xfffd
	v_add_co_ci_u32_e32 v4, vcc_lo, v7, v10, vcc_lo
	s_wait_alu 0xfffd
	v_add_co_ci_u32_e32 v7, vcc_lo, 0, v12, vcc_lo
	s_delay_alu instid0(VALU_DEP_2) | instskip(SKIP_1) | instid1(VALU_DEP_2)
	v_add_co_u32 v4, vcc_lo, v4, v11
	s_wait_alu 0xfffd
	v_add_co_ci_u32_e32 v9, vcc_lo, 0, v7, vcc_lo
	s_delay_alu instid0(VALU_DEP_2) | instskip(SKIP_1) | instid1(VALU_DEP_3)
	v_mul_lo_u32 v10, s25, v4
	v_mad_co_u64_u32 v[7:8], null, s24, v4, 0
	v_mul_lo_u32 v11, s24, v9
	s_delay_alu instid0(VALU_DEP_2) | instskip(NEXT) | instid1(VALU_DEP_2)
	v_sub_co_u32 v7, vcc_lo, v5, v7
	v_add3_u32 v8, v8, v11, v10
	s_delay_alu instid0(VALU_DEP_1) | instskip(SKIP_1) | instid1(VALU_DEP_1)
	v_sub_nc_u32_e32 v10, v6, v8
	s_wait_alu 0xfffd
	v_subrev_co_ci_u32_e64 v10, s2, s25, v10, vcc_lo
	v_add_co_u32 v11, s2, v4, 2
	s_wait_alu 0xf1ff
	v_add_co_ci_u32_e64 v12, s2, 0, v9, s2
	v_sub_co_u32 v13, s2, v7, s24
	v_sub_co_ci_u32_e32 v8, vcc_lo, v6, v8, vcc_lo
	s_wait_alu 0xf1ff
	v_subrev_co_ci_u32_e64 v10, s2, 0, v10, s2
	s_delay_alu instid0(VALU_DEP_3) | instskip(NEXT) | instid1(VALU_DEP_3)
	v_cmp_le_u32_e32 vcc_lo, s24, v13
	v_cmp_eq_u32_e64 s2, s25, v8
	s_wait_alu 0xfffd
	v_cndmask_b32_e64 v13, 0, -1, vcc_lo
	v_cmp_le_u32_e32 vcc_lo, s25, v10
	s_wait_alu 0xfffd
	v_cndmask_b32_e64 v14, 0, -1, vcc_lo
	v_cmp_le_u32_e32 vcc_lo, s24, v7
	;; [unrolled: 3-line block ×3, first 2 shown]
	s_wait_alu 0xfffd
	v_cndmask_b32_e64 v15, 0, -1, vcc_lo
	v_cmp_eq_u32_e32 vcc_lo, s25, v10
	s_wait_alu 0xf1ff
	s_delay_alu instid0(VALU_DEP_2)
	v_cndmask_b32_e64 v7, v15, v7, s2
	s_wait_alu 0xfffd
	v_cndmask_b32_e32 v10, v14, v13, vcc_lo
	v_add_co_u32 v13, vcc_lo, v4, 1
	s_wait_alu 0xfffd
	v_add_co_ci_u32_e32 v14, vcc_lo, 0, v9, vcc_lo
	s_delay_alu instid0(VALU_DEP_3) | instskip(SKIP_1) | instid1(VALU_DEP_2)
	v_cmp_ne_u32_e32 vcc_lo, 0, v10
	s_wait_alu 0xfffd
	v_cndmask_b32_e32 v8, v14, v12, vcc_lo
	v_cndmask_b32_e32 v10, v13, v11, vcc_lo
	v_cmp_ne_u32_e32 vcc_lo, 0, v7
	s_wait_alu 0xfffd
	s_delay_alu instid0(VALU_DEP_2)
	v_dual_cndmask_b32 v69, v9, v8 :: v_dual_cndmask_b32 v68, v4, v10
.LBB0_4:                                ;   in Loop: Header=BB0_2 Depth=1
	s_wait_alu 0xfffe
	s_and_not1_saveexec_b32 s2, s26
	s_cbranch_execz .LBB0_6
; %bb.5:                                ;   in Loop: Header=BB0_2 Depth=1
	v_cvt_f32_u32_e32 v4, s24
	s_sub_co_i32 s26, 0, s24
	v_mov_b32_e32 v69, v3
	s_delay_alu instid0(VALU_DEP_2) | instskip(NEXT) | instid1(TRANS32_DEP_1)
	v_rcp_iflag_f32_e32 v4, v4
	v_mul_f32_e32 v4, 0x4f7ffffe, v4
	s_delay_alu instid0(VALU_DEP_1) | instskip(SKIP_1) | instid1(VALU_DEP_1)
	v_cvt_u32_f32_e32 v4, v4
	s_wait_alu 0xfffe
	v_mul_lo_u32 v7, s26, v4
	s_delay_alu instid0(VALU_DEP_1) | instskip(NEXT) | instid1(VALU_DEP_1)
	v_mul_hi_u32 v7, v4, v7
	v_add_nc_u32_e32 v4, v4, v7
	s_delay_alu instid0(VALU_DEP_1) | instskip(NEXT) | instid1(VALU_DEP_1)
	v_mul_hi_u32 v4, v5, v4
	v_mul_lo_u32 v7, v4, s24
	v_add_nc_u32_e32 v8, 1, v4
	s_delay_alu instid0(VALU_DEP_2) | instskip(NEXT) | instid1(VALU_DEP_1)
	v_sub_nc_u32_e32 v7, v5, v7
	v_subrev_nc_u32_e32 v9, s24, v7
	v_cmp_le_u32_e32 vcc_lo, s24, v7
	s_wait_alu 0xfffd
	s_delay_alu instid0(VALU_DEP_2) | instskip(NEXT) | instid1(VALU_DEP_1)
	v_dual_cndmask_b32 v7, v7, v9 :: v_dual_cndmask_b32 v4, v4, v8
	v_cmp_le_u32_e32 vcc_lo, s24, v7
	s_delay_alu instid0(VALU_DEP_2) | instskip(SKIP_1) | instid1(VALU_DEP_1)
	v_add_nc_u32_e32 v8, 1, v4
	s_wait_alu 0xfffd
	v_cndmask_b32_e32 v68, v4, v8, vcc_lo
.LBB0_6:                                ;   in Loop: Header=BB0_2 Depth=1
	s_wait_alu 0xfffe
	s_or_b32 exec_lo, exec_lo, s2
	v_mul_lo_u32 v4, v69, s24
	s_delay_alu instid0(VALU_DEP_2)
	v_mul_lo_u32 v9, v68, s25
	s_load_b64 s[26:27], s[18:19], 0x0
	v_mad_co_u64_u32 v[7:8], null, v68, s24, 0
	s_load_b64 s[24:25], s[16:17], 0x0
	s_add_nc_u64 s[20:21], s[20:21], 1
	s_add_nc_u64 s[16:17], s[16:17], 8
	s_wait_alu 0xfffe
	v_cmp_ge_u64_e64 s2, s[20:21], s[10:11]
	s_add_nc_u64 s[18:19], s[18:19], 8
	s_add_nc_u64 s[22:23], s[22:23], 8
	v_add3_u32 v4, v8, v9, v4
	v_sub_co_u32 v5, vcc_lo, v5, v7
	s_wait_alu 0xfffd
	s_delay_alu instid0(VALU_DEP_2) | instskip(SKIP_2) | instid1(VALU_DEP_1)
	v_sub_co_ci_u32_e32 v4, vcc_lo, v6, v4, vcc_lo
	s_and_b32 vcc_lo, exec_lo, s2
	s_wait_kmcnt 0x0
	v_mul_lo_u32 v6, s26, v4
	v_mul_lo_u32 v7, s27, v5
	v_mad_co_u64_u32 v[1:2], null, s26, v5, v[1:2]
	v_mul_lo_u32 v4, s24, v4
	v_mul_lo_u32 v8, s25, v5
	v_mad_co_u64_u32 v[66:67], null, s24, v5, v[66:67]
	s_delay_alu instid0(VALU_DEP_4) | instskip(NEXT) | instid1(VALU_DEP_2)
	v_add3_u32 v2, v7, v2, v6
	v_add3_u32 v67, v8, v67, v4
	s_wait_alu 0xfffe
	s_cbranch_vccnz .LBB0_9
; %bb.7:                                ;   in Loop: Header=BB0_2 Depth=1
	v_dual_mov_b32 v5, v68 :: v_dual_mov_b32 v6, v69
	s_branch .LBB0_2
.LBB0_8:
	v_dual_mov_b32 v67, v2 :: v_dual_mov_b32 v66, v1
	v_dual_mov_b32 v69, v6 :: v_dual_mov_b32 v68, v5
.LBB0_9:
	s_load_b64 s[0:1], s[0:1], 0x28
	v_mul_hi_u32 v3, 0x1c71c72, v0
	s_lshl_b64 s[10:11], s[10:11], 3
                                        ; implicit-def: $vgpr64
	s_wait_alu 0xfffe
	s_add_nc_u64 s[2:3], s[14:15], s[10:11]
	s_wait_kmcnt 0x0
	v_cmp_gt_u64_e32 vcc_lo, s[0:1], v[68:69]
	v_cmp_le_u64_e64 s0, s[0:1], v[68:69]
	s_delay_alu instid0(VALU_DEP_1)
	s_and_saveexec_b32 s1, s0
	s_wait_alu 0xfffe
	s_xor_b32 s0, exec_lo, s1
; %bb.10:
	v_mul_u32_u24_e32 v1, 0x90, v3
                                        ; implicit-def: $vgpr3
	s_delay_alu instid0(VALU_DEP_1)
	v_sub_nc_u32_e32 v64, v0, v1
                                        ; implicit-def: $vgpr0
                                        ; implicit-def: $vgpr1_vgpr2
; %bb.11:
	s_wait_alu 0xfffe
	s_or_saveexec_b32 s1, s0
	s_load_b64 s[2:3], s[2:3], 0x0
	s_xor_b32 exec_lo, exec_lo, s1
	s_cbranch_execz .LBB0_15
; %bb.12:
	s_add_nc_u64 s[10:11], s[12:13], s[10:11]
	v_lshlrev_b64_e32 v[1:2], 4, v[1:2]
	s_load_b64 s[10:11], s[10:11], 0x0
	s_wait_kmcnt 0x0
	v_mul_lo_u32 v6, s11, v68
	v_mul_lo_u32 v7, s10, v69
	v_mad_co_u64_u32 v[4:5], null, s10, v68, 0
	s_delay_alu instid0(VALU_DEP_1) | instskip(SKIP_1) | instid1(VALU_DEP_2)
	v_add3_u32 v5, v5, v7, v6
	v_mul_u32_u24_e32 v6, 0x90, v3
	v_lshlrev_b64_e32 v[3:4], 4, v[4:5]
	s_delay_alu instid0(VALU_DEP_2) | instskip(NEXT) | instid1(VALU_DEP_1)
	v_sub_nc_u32_e32 v64, v0, v6
	v_lshlrev_b32_e32 v65, 4, v64
	s_delay_alu instid0(VALU_DEP_3) | instskip(SKIP_1) | instid1(VALU_DEP_4)
	v_add_co_u32 v0, s0, s4, v3
	s_wait_alu 0xf1ff
	v_add_co_ci_u32_e64 v3, s0, s5, v4, s0
	s_delay_alu instid0(VALU_DEP_2) | instskip(SKIP_1) | instid1(VALU_DEP_2)
	v_add_co_u32 v0, s0, v0, v1
	s_wait_alu 0xf1ff
	v_add_co_ci_u32_e64 v1, s0, v3, v2, s0
	s_delay_alu instid0(VALU_DEP_2) | instskip(SKIP_1) | instid1(VALU_DEP_2)
	v_add_co_u32 v62, s0, v0, v65
	s_wait_alu 0xf1ff
	v_add_co_ci_u32_e64 v63, s0, 0, v1, s0
	s_clause 0x17
	global_load_b128 v[2:5], v[62:63], off offset:2304
	global_load_b128 v[6:9], v[62:63], off offset:4608
	;; [unrolled: 1-line block ×22, first 2 shown]
	global_load_b128 v[98:101], v[62:63], off
	global_load_b128 v[102:105], v[62:63], off offset:52992
	v_add_nc_u32_e32 v62, 0, v65
	v_cmp_eq_u32_e64 s0, 0x8f, v64
	s_wait_loadcnt 0x17
	ds_store_b128 v62, v[2:5] offset:2304
	s_wait_loadcnt 0x16
	ds_store_b128 v62, v[6:9] offset:4608
	;; [unrolled: 2-line block ×22, first 2 shown]
	s_wait_loadcnt 0x1
	ds_store_b128 v62, v[98:101]
	s_wait_loadcnt 0x0
	ds_store_b128 v62, v[102:105] offset:52992
	s_and_saveexec_b32 s4, s0
	s_cbranch_execz .LBB0_14
; %bb.13:
	global_load_b128 v[0:3], v[0:1], off offset:55296
	v_mov_b32_e32 v4, 0
	v_mov_b32_e32 v64, 0x8f
	s_wait_loadcnt 0x0
	ds_store_b128 v4, v[0:3] offset:55296
.LBB0_14:
	s_wait_alu 0xfffe
	s_or_b32 exec_lo, exec_lo, s4
.LBB0_15:
	s_delay_alu instid0(SALU_CYCLE_1)
	s_or_b32 exec_lo, exec_lo, s1
	v_lshlrev_b32_e32 v0, 4, v64
	global_wb scope:SCOPE_SE
	s_wait_dscnt 0x0
	s_wait_kmcnt 0x0
	s_barrier_signal -1
	s_barrier_wait -1
	global_inv scope:SCOPE_SE
	v_add_nc_u32_e32 v100, 0, v0
	v_sub_nc_u32_e32 v10, 0, v0
	s_mov_b32 s1, exec_lo
                                        ; implicit-def: $vgpr4_vgpr5
	ds_load_b64 v[6:7], v100
	ds_load_b64 v[8:9], v10 offset:55296
	s_wait_dscnt 0x0
	v_add_f64_e32 v[0:1], v[6:7], v[8:9]
	v_add_f64_e64 v[2:3], v[6:7], -v[8:9]
	v_cmpx_ne_u32_e32 0, v64
	s_wait_alu 0xfffe
	s_xor_b32 s1, exec_lo, s1
	s_cbranch_execz .LBB0_17
; %bb.16:
	v_mov_b32_e32 v65, 0
	v_add_f64_e32 v[13:14], v[6:7], v[8:9]
	v_add_f64_e64 v[15:16], v[6:7], -v[8:9]
	s_delay_alu instid0(VALU_DEP_3) | instskip(NEXT) | instid1(VALU_DEP_1)
	v_lshlrev_b64_e32 v[0:1], 4, v[64:65]
	v_add_co_u32 v0, s0, s8, v0
	s_wait_alu 0xf1ff
	s_delay_alu instid0(VALU_DEP_2)
	v_add_co_ci_u32_e64 v1, s0, s9, v1, s0
	global_load_b128 v[2:5], v[0:1], off offset:55200
	ds_load_b64 v[0:1], v10 offset:55304
	ds_load_b64 v[11:12], v100 offset:8
	s_wait_dscnt 0x0
	v_add_f64_e32 v[6:7], v[0:1], v[11:12]
	v_add_f64_e64 v[0:1], v[11:12], -v[0:1]
	s_wait_loadcnt 0x0
	v_fma_f64 v[8:9], v[15:16], v[4:5], v[13:14]
	v_fma_f64 v[11:12], -v[15:16], v[4:5], v[13:14]
	s_delay_alu instid0(VALU_DEP_3) | instskip(SKIP_1) | instid1(VALU_DEP_4)
	v_fma_f64 v[13:14], v[6:7], v[4:5], -v[0:1]
	v_fma_f64 v[4:5], v[6:7], v[4:5], v[0:1]
	v_fma_f64 v[0:1], -v[6:7], v[2:3], v[8:9]
	s_delay_alu instid0(VALU_DEP_4) | instskip(NEXT) | instid1(VALU_DEP_4)
	v_fma_f64 v[6:7], v[6:7], v[2:3], v[11:12]
	v_fma_f64 v[8:9], v[15:16], v[2:3], v[13:14]
	s_delay_alu instid0(VALU_DEP_4)
	v_fma_f64 v[2:3], v[15:16], v[2:3], v[4:5]
	v_dual_mov_b32 v4, v64 :: v_dual_mov_b32 v5, v65
	ds_store_b128 v10, v[6:9] offset:55296
.LBB0_17:
	s_wait_alu 0xfffe
	s_and_not1_saveexec_b32 s0, s1
	s_cbranch_execz .LBB0_19
; %bb.18:
	v_mov_b32_e32 v8, 0
	ds_load_b128 v[4:7], v8 offset:27648
	s_wait_dscnt 0x0
	v_add_f64_e32 v[11:12], v[4:5], v[4:5]
	v_mul_f64_e32 v[13:14], -2.0, v[6:7]
	v_mov_b32_e32 v4, 0
	v_mov_b32_e32 v5, 0
	ds_store_b128 v8, v[11:14] offset:27648
.LBB0_19:
	s_wait_alu 0xfffe
	s_or_b32 exec_lo, exec_lo, s0
	v_lshlrev_b64_e32 v[4:5], 4, v[4:5]
	s_add_nc_u64 s[0:1], s[8:9], 0xd7a0
	s_mov_b32 s5, 0xbfebb67a
	v_and_b32_e32 v72, 0xff, v64
	s_wait_alu 0xfffe
	s_delay_alu instid0(VALU_DEP_2)
	v_add_co_u32 v4, s0, s0, v4
	s_wait_alu 0xf1ff
	v_add_co_ci_u32_e64 v5, s0, s1, v5, s0
	s_mov_b32 s0, 0xe8584caa
	s_mov_b32 s1, 0x3febb67a
	s_wait_alu 0xfffe
	s_mov_b32 s4, s0
	s_clause 0x1
	global_load_b128 v[6:9], v[4:5], off offset:2304
	global_load_b128 v[11:14], v[4:5], off offset:4608
	ds_store_b128 v100, v[0:3]
	ds_load_b128 v[0:3], v100 offset:2304
	ds_load_b128 v[15:18], v10 offset:52992
	global_load_b128 v[19:22], v[4:5], off offset:6912
	v_mul_lo_u16 v65, 0xab, v72
	v_mul_lo_u16 v72, v72, 57
	s_delay_alu instid0(VALU_DEP_2) | instskip(NEXT) | instid1(VALU_DEP_1)
	v_lshrrev_b16 v70, 10, v65
	v_mul_lo_u16 v65, v70, 6
	s_delay_alu instid0(VALU_DEP_1)
	v_sub_nc_u16 v65, v64, v65
	s_wait_dscnt 0x0
	v_add_f64_e32 v[23:24], v[0:1], v[15:16]
	v_add_f64_e32 v[25:26], v[17:18], v[2:3]
	v_add_f64_e64 v[27:28], v[0:1], -v[15:16]
	v_add_f64_e64 v[0:1], v[2:3], -v[17:18]
	v_and_b32_e32 v71, 0xff, v65
	v_add_nc_u32_e32 v65, 0x90, v64
	s_wait_loadcnt 0x2
	s_delay_alu instid0(VALU_DEP_4) | instskip(NEXT) | instid1(VALU_DEP_4)
	v_fma_f64 v[2:3], v[27:28], v[8:9], v[23:24]
	v_fma_f64 v[15:16], v[25:26], v[8:9], v[0:1]
	v_fma_f64 v[17:18], -v[27:28], v[8:9], v[23:24]
	v_fma_f64 v[8:9], v[25:26], v[8:9], -v[0:1]
	s_delay_alu instid0(VALU_DEP_4) | instskip(NEXT) | instid1(VALU_DEP_4)
	v_fma_f64 v[0:1], -v[25:26], v[6:7], v[2:3]
	v_fma_f64 v[2:3], v[27:28], v[6:7], v[15:16]
	s_delay_alu instid0(VALU_DEP_4) | instskip(NEXT) | instid1(VALU_DEP_4)
	v_fma_f64 v[15:16], v[25:26], v[6:7], v[17:18]
	v_fma_f64 v[17:18], v[27:28], v[6:7], v[8:9]
	ds_store_b128 v100, v[0:3] offset:2304
	ds_store_b128 v10, v[15:18] offset:52992
	ds_load_b128 v[0:3], v100 offset:4608
	ds_load_b128 v[6:9], v10 offset:50688
	global_load_b128 v[15:18], v[4:5], off offset:9216
	s_wait_dscnt 0x0
	v_add_f64_e32 v[23:24], v[0:1], v[6:7]
	v_add_f64_e32 v[25:26], v[8:9], v[2:3]
	v_add_f64_e64 v[27:28], v[0:1], -v[6:7]
	v_add_f64_e64 v[0:1], v[2:3], -v[8:9]
	s_wait_loadcnt 0x2
	s_delay_alu instid0(VALU_DEP_2) | instskip(NEXT) | instid1(VALU_DEP_2)
	v_fma_f64 v[2:3], v[27:28], v[13:14], v[23:24]
	v_fma_f64 v[6:7], v[25:26], v[13:14], v[0:1]
	v_fma_f64 v[8:9], -v[27:28], v[13:14], v[23:24]
	v_fma_f64 v[13:14], v[25:26], v[13:14], -v[0:1]
	s_delay_alu instid0(VALU_DEP_4) | instskip(NEXT) | instid1(VALU_DEP_4)
	v_fma_f64 v[0:1], -v[25:26], v[11:12], v[2:3]
	v_fma_f64 v[2:3], v[27:28], v[11:12], v[6:7]
	s_delay_alu instid0(VALU_DEP_4) | instskip(NEXT) | instid1(VALU_DEP_4)
	v_fma_f64 v[6:7], v[25:26], v[11:12], v[8:9]
	v_fma_f64 v[8:9], v[27:28], v[11:12], v[13:14]
	ds_store_b128 v100, v[0:3] offset:4608
	ds_store_b128 v10, v[6:9] offset:50688
	ds_load_b128 v[0:3], v100 offset:6912
	ds_load_b128 v[6:9], v10 offset:48384
	global_load_b128 v[11:14], v[4:5], off offset:11520
	s_wait_dscnt 0x0
	v_add_f64_e32 v[23:24], v[0:1], v[6:7]
	v_add_f64_e32 v[25:26], v[8:9], v[2:3]
	v_add_f64_e64 v[27:28], v[0:1], -v[6:7]
	v_add_f64_e64 v[0:1], v[2:3], -v[8:9]
	s_wait_loadcnt 0x2
	s_delay_alu instid0(VALU_DEP_2) | instskip(NEXT) | instid1(VALU_DEP_2)
	;; [unrolled: 22-line block ×8, first 2 shown]
	v_fma_f64 v[2:3], v[6:7], v[21:22], v[4:5]
	v_fma_f64 v[8:9], v[23:24], v[21:22], v[0:1]
	v_fma_f64 v[4:5], -v[6:7], v[21:22], v[4:5]
	v_fma_f64 v[21:22], v[23:24], v[21:22], -v[0:1]
	s_delay_alu instid0(VALU_DEP_4) | instskip(NEXT) | instid1(VALU_DEP_4)
	v_fma_f64 v[0:1], -v[23:24], v[19:20], v[2:3]
	v_fma_f64 v[2:3], v[6:7], v[19:20], v[8:9]
	s_delay_alu instid0(VALU_DEP_4) | instskip(NEXT) | instid1(VALU_DEP_4)
	v_fma_f64 v[4:5], v[23:24], v[19:20], v[4:5]
	v_fma_f64 v[6:7], v[6:7], v[19:20], v[21:22]
	ds_store_b128 v100, v[0:3] offset:20736
	ds_store_b128 v10, v[4:7] offset:34560
	ds_load_b128 v[0:3], v100 offset:23040
	ds_load_b128 v[4:7], v10 offset:32256
	s_wait_dscnt 0x0
	v_add_f64_e32 v[8:9], v[0:1], v[4:5]
	v_add_f64_e32 v[19:20], v[6:7], v[2:3]
	v_add_f64_e64 v[21:22], v[0:1], -v[4:5]
	v_add_f64_e64 v[0:1], v[2:3], -v[6:7]
	s_wait_loadcnt 0x1
	s_delay_alu instid0(VALU_DEP_2) | instskip(NEXT) | instid1(VALU_DEP_2)
	v_fma_f64 v[2:3], v[21:22], v[17:18], v[8:9]
	v_fma_f64 v[4:5], v[19:20], v[17:18], v[0:1]
	v_fma_f64 v[6:7], -v[21:22], v[17:18], v[8:9]
	v_fma_f64 v[8:9], v[19:20], v[17:18], -v[0:1]
	s_delay_alu instid0(VALU_DEP_4) | instskip(NEXT) | instid1(VALU_DEP_4)
	v_fma_f64 v[0:1], -v[19:20], v[15:16], v[2:3]
	v_fma_f64 v[2:3], v[21:22], v[15:16], v[4:5]
	s_delay_alu instid0(VALU_DEP_4) | instskip(NEXT) | instid1(VALU_DEP_4)
	v_fma_f64 v[4:5], v[19:20], v[15:16], v[6:7]
	v_fma_f64 v[6:7], v[21:22], v[15:16], v[8:9]
	ds_store_b128 v100, v[0:3] offset:23040
	ds_store_b128 v10, v[4:7] offset:32256
	ds_load_b128 v[0:3], v100 offset:25344
	ds_load_b128 v[4:7], v10 offset:29952
	s_wait_dscnt 0x0
	v_add_f64_e32 v[8:9], v[0:1], v[4:5]
	v_add_f64_e32 v[15:16], v[6:7], v[2:3]
	v_add_f64_e64 v[17:18], v[0:1], -v[4:5]
	v_add_f64_e64 v[0:1], v[2:3], -v[6:7]
	s_wait_loadcnt 0x0
	s_delay_alu instid0(VALU_DEP_2) | instskip(NEXT) | instid1(VALU_DEP_2)
	v_fma_f64 v[2:3], v[17:18], v[13:14], v[8:9]
	v_fma_f64 v[4:5], v[15:16], v[13:14], v[0:1]
	v_fma_f64 v[6:7], -v[17:18], v[13:14], v[8:9]
	v_fma_f64 v[8:9], v[15:16], v[13:14], -v[0:1]
	s_delay_alu instid0(VALU_DEP_4) | instskip(NEXT) | instid1(VALU_DEP_4)
	v_fma_f64 v[0:1], -v[15:16], v[11:12], v[2:3]
	v_fma_f64 v[2:3], v[17:18], v[11:12], v[4:5]
	s_delay_alu instid0(VALU_DEP_4) | instskip(NEXT) | instid1(VALU_DEP_4)
	v_fma_f64 v[4:5], v[15:16], v[11:12], v[6:7]
	v_fma_f64 v[6:7], v[17:18], v[11:12], v[8:9]
	ds_store_b128 v100, v[0:3] offset:25344
	ds_store_b128 v10, v[4:7] offset:29952
	global_wb scope:SCOPE_SE
	s_wait_dscnt 0x0
	s_barrier_signal -1
	s_barrier_wait -1
	global_inv scope:SCOPE_SE
	global_wb scope:SCOPE_SE
	s_barrier_signal -1
	s_barrier_wait -1
	global_inv scope:SCOPE_SE
	ds_load_b128 v[4:7], v100 offset:27648
	ds_load_b128 v[0:3], v100 offset:46080
	;; [unrolled: 1-line block ×10, first 2 shown]
	ds_load_b128 v[36:39], v100
	ds_load_b128 v[40:43], v100 offset:36864
	ds_load_b128 v[52:55], v100 offset:18432
	;; [unrolled: 1-line block ×13, first 2 shown]
	global_wb scope:SCOPE_SE
	s_wait_dscnt 0x0
	s_barrier_signal -1
	s_barrier_wait -1
	global_inv scope:SCOPE_SE
	v_add_f64_e32 v[50:51], v[4:5], v[0:1]
	v_add_f64_e32 v[48:49], v[6:7], v[2:3]
	;; [unrolled: 1-line block ×11, first 2 shown]
	v_add_f64_e64 v[6:7], v[6:7], -v[2:3]
	v_add_f64_e64 v[4:5], v[4:5], -v[0:1]
	;; [unrolled: 1-line block ×4, first 2 shown]
	v_add_f64_e32 v[123:124], v[36:37], v[52:53]
	v_add_f64_e32 v[131:132], v[60:61], v[73:74]
	v_add_f64_e64 v[139:140], v[18:19], -v[10:11]
	v_add_f64_e64 v[141:142], v[16:17], -v[8:9]
	v_add_f64_e32 v[16:17], v[109:110], v[16:17]
	v_add_f64_e32 v[18:19], v[111:112], v[18:19]
	v_add_f64_e64 v[133:134], v[54:55], -v[42:43]
	v_add_f64_e32 v[54:55], v[54:55], v[42:43]
	v_add_f64_e32 v[22:23], v[83:84], v[22:23]
	;; [unrolled: 1-line block ×4, first 2 shown]
	v_fma_f64 v[50:51], v[50:51], -0.5, v[56:57]
	v_fma_f64 v[48:49], v[48:49], -0.5, v[58:59]
	;; [unrolled: 1-line block ×4, first 2 shown]
	v_add_f64_e32 v[56:57], v[62:63], v[75:76]
	v_fma_f64 v[115:116], v[115:116], -0.5, v[111:112]
	v_fma_f64 v[117:118], v[117:118], -0.5, v[109:110]
	v_add_f64_e64 v[109:110], v[46:47], -v[26:27]
	v_fma_f64 v[111:112], v[119:120], -0.5, v[85:86]
	v_add_f64_e64 v[119:120], v[44:45], -v[24:25]
	v_fma_f64 v[121:122], v[121:122], -0.5, v[87:88]
	v_add_f64_e32 v[58:59], v[52:53], v[40:41]
	v_add_f64_e32 v[42:43], v[125:126], v[42:43]
	;; [unrolled: 1-line block ×7, first 2 shown]
	v_add_f64_e64 v[83:84], v[75:76], -v[103:104]
	v_add_f64_e32 v[75:76], v[75:76], v[103:104]
	v_add_f64_e64 v[52:53], v[52:53], -v[40:41]
	v_add_f64_e64 v[73:74], v[73:74], -v[101:102]
	v_add_f64_e32 v[40:41], v[123:124], v[40:41]
	v_add_f64_e64 v[123:124], v[95:96], -v[107:108]
	v_add_f64_e32 v[95:96], v[95:96], v[107:108]
	v_add_f64_e32 v[101:102], v[131:132], v[101:102]
	;; [unrolled: 1-line block ×3, first 2 shown]
	v_fma_f64 v[38:39], v[54:55], -0.5, v[38:39]
	v_add_f64_e32 v[12:13], v[20:21], v[12:13]
	v_add_f64_e64 v[93:94], v[93:94], -v[105:106]
	v_fma_f64 v[89:90], v[143:144], -0.5, v[89:90]
	v_fma_f64 v[125:126], v[6:7], s[0:1], v[50:51]
	s_wait_alu 0xfffe
	v_fma_f64 v[145:146], v[4:5], s[4:5], v[48:49]
	v_fma_f64 v[50:51], v[6:7], s[4:5], v[50:51]
	;; [unrolled: 1-line block ×3, first 2 shown]
	v_add_f64_e32 v[6:7], v[127:128], v[0:1]
	v_add_f64_e32 v[127:128], v[129:130], v[2:3]
	v_fma_f64 v[129:130], v[137:138], s[4:5], v[97:98]
	v_fma_f64 v[147:148], v[135:136], s[0:1], v[113:114]
	;; [unrolled: 1-line block ×4, first 2 shown]
	v_add_f64_e32 v[56:57], v[56:57], v[103:104]
	v_fma_f64 v[103:104], v[141:142], s[4:5], v[115:116]
	v_fma_f64 v[131:132], v[139:140], s[0:1], v[117:118]
	;; [unrolled: 1-line block ×4, first 2 shown]
	v_add_f64_e32 v[2:3], v[28:29], v[32:33]
	v_add_f64_e32 v[135:136], v[30:31], v[34:35]
	v_fma_f64 v[137:138], v[109:110], s[0:1], v[111:112]
	v_fma_f64 v[109:110], v[109:110], s[4:5], v[111:112]
	;; [unrolled: 1-line block ×4, first 2 shown]
	v_add_f64_e32 v[4:5], v[77:78], v[28:29]
	v_add_f64_e32 v[0:1], v[79:80], v[30:31]
	v_fma_f64 v[36:37], v[58:59], -0.5, v[36:37]
	v_add_f64_e32 v[20:21], v[85:86], v[105:106]
	v_add_f64_e32 v[22:23], v[87:88], v[107:108]
	;; [unrolled: 1-line block ×4, first 2 shown]
	v_fma_f64 v[60:61], v[81:82], -0.5, v[60:61]
	v_fma_f64 v[62:63], v[75:76], -0.5, v[62:63]
	;; [unrolled: 1-line block ×3, first 2 shown]
	v_add_f64_e32 v[44:45], v[44:45], v[24:25]
	v_add_f64_e32 v[46:47], v[46:47], v[26:27]
	v_add_f64_e64 v[30:31], v[30:31], -v[34:35]
	v_add_f64_e64 v[28:29], v[28:29], -v[32:33]
	v_add_f64_e32 v[8:9], v[101:102], v[12:13]
	v_add_f64_e64 v[12:13], v[101:102], -v[12:13]
	v_mul_f64_e32 v[58:59], s[4:5], v[125:126]
	v_mul_f64_e32 v[54:55], s[0:1], v[145:146]
	v_mul_f64_e32 v[16:17], -0.5, v[50:51]
	v_mul_f64_e32 v[18:19], -0.5, v[48:49]
	v_mul_f64_e32 v[75:76], s[0:1], v[129:130]
	v_mul_f64_e32 v[81:82], s[4:5], v[147:148]
	v_mul_f64_e32 v[105:106], -0.5, v[113:114]
	v_mul_f64_e32 v[107:108], -0.5, v[97:98]
	v_add_f64_e32 v[10:11], v[56:57], v[14:15]
	v_mul_f64_e32 v[95:96], s[0:1], v[103:104]
	v_mul_f64_e32 v[121:122], s[4:5], v[131:132]
	v_mul_f64_e32 v[24:25], -0.5, v[117:118]
	v_mul_f64_e32 v[26:27], -0.5, v[115:116]
	v_fma_f64 v[77:78], v[2:3], -0.5, v[77:78]
	v_fma_f64 v[79:80], v[135:136], -0.5, v[79:80]
	v_mul_f64_e32 v[139:140], s[4:5], v[137:138]
	v_mul_f64_e32 v[141:142], -0.5, v[109:110]
	v_mul_f64_e32 v[135:136], s[0:1], v[111:112]
	v_mul_f64_e32 v[143:144], -0.5, v[119:120]
	v_add_f64_e32 v[32:33], v[4:5], v[32:33]
	v_add_f64_e32 v[34:35], v[0:1], v[34:35]
	;; [unrolled: 1-line block ×4, first 2 shown]
	v_add_f64_e64 v[4:5], v[40:41], -v[6:7]
	v_add_f64_e64 v[6:7], v[42:43], -v[127:128]
	;; [unrolled: 1-line block ×3, first 2 shown]
	v_fma_f64 v[40:41], v[133:134], s[0:1], v[36:37]
	v_fma_f64 v[42:43], v[52:53], s[4:5], v[38:39]
	;; [unrolled: 1-line block ×5, first 2 shown]
	v_fma_f64 v[56:57], v[145:146], 0.5, v[58:59]
	v_fma_f64 v[54:55], v[125:126], 0.5, v[54:55]
	v_fma_f64 v[58:59], v[133:134], s[4:5], v[36:37]
	v_fma_f64 v[48:49], v[48:49], s[0:1], v[16:17]
	;; [unrolled: 1-line block ×4, first 2 shown]
	v_fma_f64 v[75:76], v[147:148], 0.5, v[75:76]
	v_fma_f64 v[81:82], v[129:130], 0.5, v[81:82]
	v_fma_f64 v[62:63], v[73:74], s[0:1], v[62:63]
	v_fma_f64 v[73:74], v[97:98], s[0:1], v[105:106]
	;; [unrolled: 1-line block ×5, first 2 shown]
	v_fma_f64 v[95:96], v[131:132], 0.5, v[95:96]
	v_fma_f64 v[103:104], v[103:104], 0.5, v[121:122]
	v_fma_f64 v[89:90], v[123:124], s[4:5], v[89:90]
	v_fma_f64 v[91:92], v[93:94], s[0:1], v[91:92]
	;; [unrolled: 1-line block ×6, first 2 shown]
	v_fma_f64 v[117:118], v[137:138], 0.5, v[135:136]
	v_fma_f64 v[111:112], v[111:112], 0.5, v[139:140]
	v_fma_f64 v[121:122], v[30:31], s[4:5], v[77:78]
	v_fma_f64 v[123:124], v[28:29], s[0:1], v[79:80]
	;; [unrolled: 1-line block ×4, first 2 shown]
	v_add_f64_e32 v[24:25], v[32:33], v[44:45]
	v_add_f64_e32 v[26:27], v[34:35], v[46:47]
	v_add_f64_e64 v[28:29], v[32:33], -v[44:45]
	v_add_f64_e64 v[30:31], v[34:35], -v[46:47]
	v_add_f64_e32 v[16:17], v[20:21], v[85:86]
	v_add_f64_e32 v[18:19], v[22:23], v[87:88]
	v_add_f64_e64 v[20:21], v[20:21], -v[85:86]
	v_add_f64_e64 v[22:23], v[22:23], -v[87:88]
	;; [unrolled: 4-line block ×4, first 2 shown]
	v_add_f64_e32 v[48:49], v[101:102], v[75:76]
	v_add_f64_e32 v[50:51], v[125:126], v[81:82]
	v_add_f64_e32 v[56:57], v[60:61], v[73:74]
	v_add_f64_e32 v[58:59], v[62:63], v[83:84]
	v_add_f64_e64 v[52:53], v[101:102], -v[75:76]
	v_add_f64_e64 v[54:55], v[125:126], -v[81:82]
	v_add_f64_e64 v[60:61], v[60:61], -v[73:74]
	v_add_f64_e64 v[62:63], v[62:63], -v[83:84]
	v_add_f64_e32 v[74:75], v[97:98], v[95:96]
	v_add_f64_e32 v[76:77], v[105:106], v[103:104]
	v_add_f64_e32 v[82:83], v[89:90], v[93:94]
	v_add_f64_e32 v[84:85], v[91:92], v[107:108]
	v_add_f64_e64 v[78:79], v[97:98], -v[95:96]
	v_add_f64_e64 v[80:81], v[105:106], -v[103:104]
	v_add_f64_e64 v[86:87], v[89:90], -v[93:94]
	v_add_f64_e64 v[88:89], v[91:92], -v[107:108]
	;; [unrolled: 8-line block ×3, first 2 shown]
	v_mul_u32_u24_e32 v73, 6, v64
	v_mul_u32_u24_e32 v98, 5, v71
	s_delay_alu instid0(VALU_DEP_2) | instskip(NEXT) | instid1(VALU_DEP_2)
	v_lshl_add_u32 v99, v73, 4, 0
	v_lshlrev_b32_e32 v98, 4, v98
	v_and_b32_e32 v73, 0xffff, v65
	ds_store_b128 v99, v[0:3]
	ds_store_b128 v99, v[32:35] offset:16
	ds_store_b128 v99, v[4:7] offset:48
	;; [unrolled: 1-line block ×23, first 2 shown]
	global_wb scope:SCOPE_SE
	s_wait_dscnt 0x0
	s_barrier_signal -1
	s_barrier_wait -1
	global_inv scope:SCOPE_SE
	s_clause 0x3
	global_load_b128 v[20:23], v98, s[8:9]
	global_load_b128 v[16:19], v98, s[8:9] offset:16
	global_load_b128 v[8:11], v98, s[8:9] offset:32
	global_load_b128 v[4:7], v98, s[8:9] offset:48
	v_mul_u32_u24_e32 v0, 0xaaab, v73
	v_add_nc_u32_e32 v74, 0x120, v64
	v_add_nc_u32_e32 v101, 0x1b0, v64
	s_delay_alu instid0(VALU_DEP_3) | instskip(NEXT) | instid1(VALU_DEP_3)
	v_lshrrev_b32_e32 v78, 18, v0
	v_and_b32_e32 v75, 0xffff, v74
	s_delay_alu instid0(VALU_DEP_3) | instskip(NEXT) | instid1(VALU_DEP_3)
	v_and_b32_e32 v76, 0xffff, v101
	v_mul_lo_u16 v0, v78, 6
	s_delay_alu instid0(VALU_DEP_3) | instskip(NEXT) | instid1(VALU_DEP_2)
	v_mul_u32_u24_e32 v40, 0xaaab, v75
	v_sub_nc_u16 v0, v65, v0
	s_delay_alu instid0(VALU_DEP_2) | instskip(NEXT) | instid1(VALU_DEP_2)
	v_lshrrev_b32_e32 v80, 18, v40
	v_and_b32_e32 v77, 0xffff, v0
	global_load_b128 v[0:3], v98, s[8:9] offset:64
	v_mul_lo_u16 v40, v80, 6
	v_mul_u32_u24_e32 v12, 5, v77
	s_delay_alu instid0(VALU_DEP_2) | instskip(NEXT) | instid1(VALU_DEP_2)
	v_sub_nc_u16 v40, v74, v40
	v_lshlrev_b32_e32 v36, 4, v12
	s_clause 0x2
	global_load_b128 v[24:27], v36, s[8:9]
	global_load_b128 v[12:15], v36, s[8:9] offset:16
	global_load_b128 v[32:35], v36, s[8:9] offset:32
	v_and_b32_e32 v79, 0xffff, v40
	global_load_b128 v[28:31], v36, s[8:9] offset:48
	v_mul_u32_u24_e32 v40, 5, v79
	s_delay_alu instid0(VALU_DEP_1)
	v_lshlrev_b32_e32 v81, 4, v40
	s_clause 0x1
	global_load_b128 v[40:43], v81, s[8:9]
	global_load_b128 v[36:39], v36, s[8:9] offset:64
	ds_load_b128 v[60:63], v100 offset:9216
	ds_load_b128 v[56:59], v100 offset:18432
	;; [unrolled: 1-line block ×8, first 2 shown]
	global_load_b128 v[102:105], v81, s[8:9] offset:16
	ds_load_b128 v[96:99], v100 offset:34560
	ds_load_b128 v[106:109], v100 offset:11520
	;; [unrolled: 1-line block ×5, first 2 shown]
	s_wait_loadcnt_dscnt 0xb0c
	v_mul_f64_e32 v[82:83], v[62:63], v[22:23]
	v_mul_f64_e32 v[22:23], v[60:61], v[22:23]
	s_wait_loadcnt_dscnt 0xa0b
	v_mul_f64_e32 v[122:123], v[58:59], v[18:19]
	v_mul_f64_e32 v[124:125], v[56:57], v[18:19]
	;; [unrolled: 3-line block ×3, first 2 shown]
	v_mul_f64_e32 v[126:127], v[54:55], v[10:11]
	v_mul_f64_e32 v[10:11], v[52:53], v[10:11]
	s_wait_loadcnt_dscnt 0x706
	v_mul_f64_e32 v[130:131], v[90:91], v[2:3]
	v_mul_f64_e32 v[2:3], v[88:89], v[2:3]
	v_fma_f64 v[132:133], v[60:61], v[20:21], -v[82:83]
	v_fma_f64 v[134:135], v[62:63], v[20:21], v[22:23]
	ds_load_b128 v[18:21], v100 offset:13824
	s_wait_loadcnt_dscnt 0x604
	v_mul_f64_e32 v[22:23], v[108:109], v[26:27]
	v_mul_f64_e32 v[26:27], v[106:107], v[26:27]
	v_fma_f64 v[122:123], v[56:57], v[16:17], -v[122:123]
	v_fma_f64 v[124:125], v[58:59], v[16:17], v[124:125]
	ds_load_b128 v[56:59], v100 offset:23040
	ds_load_b128 v[60:63], v100 offset:32256
	s_wait_loadcnt_dscnt 0x404
	v_mul_f64_e32 v[140:141], v[116:117], v[34:35]
	v_mul_f64_e32 v[34:35], v[114:115], v[34:35]
	v_fma_f64 v[128:129], v[48:49], v[4:5], -v[128:129]
	v_fma_f64 v[142:143], v[50:51], v[4:5], v[6:7]
	global_load_b128 v[48:51], v81, s[8:9] offset:32
	v_mul_f64_e32 v[136:137], v[112:113], v[14:15]
	v_fma_f64 v[126:127], v[52:53], v[8:9], -v[126:127]
	v_fma_f64 v[138:139], v[54:55], v[8:9], v[10:11]
	global_load_b128 v[52:55], v81, s[8:9] offset:48
	v_mul_f64_e32 v[8:9], v[110:111], v[14:15]
	v_mul_u32_u24_e32 v82, 0xaaab, v76
	ds_load_b128 v[4:7], v100 offset:39168
	ds_load_b128 v[14:17], v100 offset:48384
	v_lshrrev_b32_e32 v83, 18, v82
	v_fma_f64 v[130:131], v[88:89], v[0:1], -v[130:131]
	v_fma_f64 v[144:145], v[90:91], v[0:1], v[2:3]
	s_delay_alu instid0(VALU_DEP_3) | instskip(SKIP_1) | instid1(VALU_DEP_2)
	v_mul_lo_u16 v10, v83, 6
	v_mul_u32_u24_e32 v158, 0x240, v83
	v_sub_nc_u16 v0, v101, v10
	s_delay_alu instid0(VALU_DEP_1) | instskip(SKIP_2) | instid1(VALU_DEP_3)
	v_and_b32_e32 v82, 0xffff, v0
	v_fma_f64 v[146:147], v[106:107], v[24:25], -v[22:23]
	v_fma_f64 v[148:149], v[108:109], v[24:25], v[26:27]
	v_mul_u32_u24_e32 v88, 5, v82
	ds_load_b128 v[22:25], v100 offset:41472
	s_wait_loadcnt_dscnt 0x502
	v_mul_f64_e32 v[0:1], v[6:7], v[30:31]
	v_mul_f64_e32 v[26:27], v[4:5], v[30:31]
	v_fma_f64 v[114:115], v[114:115], v[32:33], -v[140:141]
	v_fma_f64 v[116:117], v[116:117], v[32:33], v[34:35]
	global_load_b128 v[30:33], v81, s[8:9] offset:64
	v_lshlrev_b32_e32 v81, 4, v88
	v_fma_f64 v[136:137], v[110:111], v[12:13], -v[136:137]
	v_fma_f64 v[2:3], v[112:113], v[12:13], v[8:9]
	ds_load_b128 v[10:13], v100 offset:50688
	s_wait_loadcnt_dscnt 0x402
	v_mul_f64_e32 v[106:107], v[16:17], v[38:39]
	v_mul_f64_e32 v[38:39], v[14:15], v[38:39]
	global_load_b128 v[88:91], v81, s[8:9]
	v_fma_f64 v[140:141], v[4:5], v[28:29], -v[0:1]
	v_fma_f64 v[8:9], v[6:7], v[28:29], v[26:27]
	global_load_b128 v[26:29], v81, s[8:9] offset:16
	v_mul_f64_e32 v[0:1], v[20:21], v[42:43]
	v_mul_f64_e32 v[42:43], v[18:19], v[42:43]
	v_fma_f64 v[4:5], v[14:15], v[36:37], -v[106:107]
	v_fma_f64 v[6:7], v[16:17], v[36:37], v[38:39]
	s_clause 0x2
	global_load_b128 v[34:37], v81, s[8:9] offset:32
	global_load_b128 v[106:109], v81, s[8:9] offset:64
	;; [unrolled: 1-line block ×3, first 2 shown]
	s_wait_loadcnt 0x8
	v_mul_f64_e32 v[16:17], v[56:57], v[104:105]
	v_fma_f64 v[150:151], v[18:19], v[40:41], -v[0:1]
	v_mul_f64_e32 v[0:1], v[58:59], v[104:105]
	v_fma_f64 v[152:153], v[20:21], v[40:41], v[42:43]
	v_add_f64_e32 v[104:105], v[138:139], v[144:145]
	v_fma_f64 v[16:17], v[58:59], v[102:103], v[16:17]
	s_delay_alu instid0(VALU_DEP_4) | instskip(NEXT) | instid1(VALU_DEP_3)
	v_fma_f64 v[14:15], v[56:57], v[102:103], -v[0:1]
	v_fma_f64 v[104:105], v[104:105], -0.5, v[134:135]
	s_wait_loadcnt 0x7
	v_mul_f64_e32 v[0:1], v[60:61], v[50:51]
	v_mul_f64_e32 v[18:19], v[62:63], v[50:51]
	s_wait_loadcnt_dscnt 0x601
	v_mul_f64_e32 v[20:21], v[24:25], v[54:55]
	v_mul_f64_e32 v[38:39], v[22:23], v[54:55]
	s_wait_loadcnt_dscnt 0x500
	v_mul_f64_e32 v[40:41], v[12:13], v[32:33]
	v_fma_f64 v[102:103], v[62:63], v[48:49], v[0:1]
	v_mul_f64_e32 v[0:1], v[10:11], v[32:33]
	v_fma_f64 v[58:59], v[60:61], v[48:49], -v[18:19]
	ds_load_b128 v[48:51], v100 offset:52992
	v_fma_f64 v[18:19], v[22:23], v[52:53], -v[20:21]
	v_fma_f64 v[20:21], v[24:25], v[52:53], v[38:39]
	v_add_f64_e32 v[62:63], v[124:125], v[142:143]
	ds_load_b128 v[52:55], v100 offset:4608
	s_wait_loadcnt 0x4
	v_mul_f64_e32 v[32:33], v[86:87], v[90:91]
	v_mul_f64_e32 v[42:43], v[84:85], v[90:91]
	v_add_f64_e32 v[90:91], v[2:3], v[8:9]
	s_wait_loadcnt 0x3
	v_mul_f64_e32 v[22:23], v[94:95], v[28:29]
	v_mul_f64_e32 v[24:25], v[92:93], v[28:29]
	v_fma_f64 v[10:11], v[10:11], v[30:31], -v[40:41]
	v_fma_f64 v[12:13], v[12:13], v[30:31], v[0:1]
	ds_load_b128 v[28:31], v100
	s_wait_loadcnt 0x2
	v_mul_f64_e32 v[0:1], v[96:97], v[36:37]
	v_mul_f64_e32 v[38:39], v[98:99], v[36:37]
	s_wait_loadcnt_dscnt 0x102
	v_mul_f64_e32 v[36:37], v[50:51], v[108:109]
	v_fma_f64 v[84:85], v[84:85], v[88:89], -v[32:33]
	v_mul_f64_e32 v[32:33], v[48:49], v[108:109]
	s_wait_loadcnt 0x0
	v_mul_f64_e32 v[56:57], v[120:121], v[112:113]
	v_fma_f64 v[86:87], v[86:87], v[88:89], v[42:43]
	v_add_f64_e32 v[88:89], v[136:137], v[140:141]
	v_mul_f64_e32 v[60:61], v[118:119], v[112:113]
	v_add_f64_e32 v[112:113], v[116:117], v[6:7]
	v_fma_f64 v[40:41], v[92:93], v[26:27], -v[22:23]
	v_fma_f64 v[42:43], v[94:95], v[26:27], v[24:25]
	v_add_f64_e32 v[22:23], v[122:123], v[128:129]
	v_fma_f64 v[94:95], v[98:99], v[34:35], v[0:1]
	v_add_f64_e32 v[0:1], v[14:15], v[18:19]
	v_fma_f64 v[92:93], v[96:97], v[34:35], -v[38:39]
	v_add_f64_e32 v[96:97], v[16:17], v[20:21]
	v_fma_f64 v[24:25], v[48:49], v[106:107], -v[36:37]
	v_fma_f64 v[26:27], v[50:51], v[106:107], v[32:33]
	s_wait_dscnt 0x0
	v_add_f64_e32 v[98:99], v[28:29], v[122:123]
	v_add_f64_e32 v[106:107], v[126:127], v[130:131]
	ds_load_b128 v[48:51], v100 offset:2304
	v_fma_f64 v[38:39], v[118:119], v[110:111], -v[56:57]
	v_add_f64_e32 v[118:119], v[114:115], v[4:5]
	v_add_f64_e32 v[56:57], v[52:53], v[14:15]
	v_fma_f64 v[36:37], v[120:121], v[110:111], v[60:61]
	v_add_f64_e32 v[60:61], v[30:31], v[124:125]
	v_fma_f64 v[34:35], v[62:63], -0.5, v[30:31]
	v_add_f64_e32 v[62:63], v[54:55], v[16:17]
	v_fma_f64 v[112:113], v[112:113], -0.5, v[148:149]
	global_wb scope:SCOPE_SE
	s_wait_dscnt 0x0
	s_barrier_signal -1
	s_barrier_wait -1
	global_inv scope:SCOPE_SE
	v_add_f64_e32 v[110:111], v[50:51], v[2:3]
	v_fma_f64 v[32:33], v[22:23], -0.5, v[28:29]
	v_fma_f64 v[28:29], v[88:89], -0.5, v[48:49]
	v_add_f64_e32 v[88:89], v[102:103], v[12:13]
	v_fma_f64 v[30:31], v[90:91], -0.5, v[50:51]
	v_add_f64_e32 v[108:109], v[48:49], v[136:137]
	v_add_f64_e64 v[48:49], v[122:123], -v[128:129]
	v_add_f64_e32 v[122:123], v[132:133], v[126:127]
	v_add_f64_e64 v[126:127], v[126:127], -v[130:131]
	v_add_f64_e32 v[90:91], v[134:135], v[138:139]
	v_add_f64_e32 v[134:135], v[152:153], v[102:103]
	v_fma_f64 v[22:23], v[0:1], -0.5, v[52:53]
	v_add_f64_e32 v[52:53], v[58:59], v[10:11]
	v_fma_f64 v[0:1], v[96:97], -0.5, v[54:55]
	v_add_f64_e32 v[96:97], v[92:93], v[24:25]
	v_add_f64_e32 v[120:121], v[94:95], v[26:27]
	v_add_f64_e32 v[50:51], v[98:99], v[128:129]
	v_add_f64_e64 v[98:99], v[138:139], -v[144:145]
	v_fma_f64 v[106:107], v[106:107], -0.5, v[132:133]
	v_add_f64_e64 v[54:55], v[124:125], -v[142:143]
	v_add_f64_e32 v[124:125], v[148:149], v[116:117]
	v_add_f64_e64 v[116:117], v[116:117], -v[6:7]
	v_fma_f64 v[118:119], v[118:119], -0.5, v[146:147]
	v_add_f64_e32 v[128:129], v[146:147], v[114:115]
	v_add_f64_e64 v[114:115], v[114:115], -v[4:5]
	v_add_f64_e64 v[146:147], v[58:59], -v[10:11]
	;; [unrolled: 1-line block ×3, first 2 shown]
	v_add_f64_e32 v[60:61], v[60:61], v[142:143]
	v_add_f64_e32 v[142:143], v[84:85], v[92:93]
	v_add_f64_e64 v[92:93], v[92:93], -v[24:25]
	v_add_f64_e32 v[132:133], v[150:151], v[58:59]
	v_add_f64_e64 v[148:149], v[14:15], -v[18:19]
	v_add_f64_e64 v[14:15], v[16:17], -v[20:21]
	;; [unrolled: 1-line block ×3, first 2 shown]
	v_add_f64_e32 v[56:57], v[56:57], v[18:19]
	v_add_f64_e32 v[62:63], v[62:63], v[20:21]
	;; [unrolled: 1-line block ×3, first 2 shown]
	v_fma_f64 v[88:89], v[88:89], -0.5, v[152:153]
	v_add_f64_e32 v[122:123], v[122:123], v[130:131]
	v_add_f64_e32 v[130:131], v[40:41], v[38:39]
	;; [unrolled: 1-line block ×3, first 2 shown]
	v_fma_f64 v[138:139], v[52:53], -0.5, v[150:151]
	v_add_f64_e32 v[52:53], v[108:109], v[140:141]
	v_fma_f64 v[84:85], v[96:97], -0.5, v[84:85]
	v_add_f64_e32 v[96:97], v[86:87], v[94:95]
	v_fma_f64 v[86:87], v[120:121], -0.5, v[86:87]
	v_add_f64_e64 v[94:95], v[94:95], -v[26:27]
	v_fma_f64 v[58:59], v[98:99], s[4:5], v[106:107]
	v_fma_f64 v[120:121], v[98:99], s[0:1], v[106:107]
	;; [unrolled: 1-line block ×4, first 2 shown]
	v_add_f64_e32 v[108:109], v[44:45], v[40:41]
	v_fma_f64 v[144:145], v[116:117], s[0:1], v[118:119]
	v_fma_f64 v[116:117], v[116:117], s[4:5], v[118:119]
	;; [unrolled: 1-line block ×3, first 2 shown]
	v_add_f64_e64 v[106:107], v[136:137], -v[140:141]
	v_add_f64_e32 v[136:137], v[42:43], v[36:37]
	v_add_f64_e32 v[126:127], v[46:47], v[42:43]
	v_fma_f64 v[42:43], v[114:115], s[0:1], v[112:113]
	v_add_f64_e64 v[140:141], v[2:3], -v[8:9]
	v_add_f64_e32 v[112:113], v[128:129], v[4:5]
	v_add_f64_e32 v[114:115], v[124:125], v[6:7]
	v_add_f64_e64 v[40:41], v[40:41], -v[38:39]
	v_fma_f64 v[124:125], v[146:147], s[4:5], v[88:89]
	v_fma_f64 v[20:21], v[146:147], s[0:1], v[88:89]
	v_add_f64_e32 v[2:3], v[50:51], v[122:123]
	v_add_f64_e64 v[6:7], v[50:51], -v[122:123]
	v_fma_f64 v[50:51], v[54:55], s[0:1], v[32:33]
	v_fma_f64 v[54:55], v[54:55], s[4:5], v[32:33]
	v_add_f64_e32 v[4:5], v[60:61], v[90:91]
	v_fma_f64 v[128:129], v[102:103], s[0:1], v[138:139]
	v_fma_f64 v[18:19], v[102:103], s[4:5], v[138:139]
	v_add_f64_e64 v[8:9], v[60:61], -v[90:91]
	v_add_f64_e32 v[96:97], v[96:97], v[26:27]
	v_fma_f64 v[88:89], v[92:93], s[4:5], v[86:87]
	v_fma_f64 v[138:139], v[94:95], s[0:1], v[84:85]
	;; [unrolled: 1-line block ×3, first 2 shown]
	v_mul_f64_e32 v[94:95], -0.5, v[58:59]
	v_fma_f64 v[86:87], v[92:93], s[0:1], v[86:87]
	v_mul_f64_e32 v[102:103], s[0:1], v[98:99]
	v_mul_f64_e32 v[146:147], s[4:5], v[120:121]
	v_add_f64_e32 v[92:93], v[132:133], v[10:11]
	v_mul_f64_e32 v[10:11], -0.5, v[104:105]
	v_add_f64_e32 v[132:133], v[134:135], v[12:13]
	v_add_f64_e32 v[38:39], v[108:109], v[38:39]
	;; [unrolled: 1-line block ×3, first 2 shown]
	v_mul_f64_e32 v[12:13], s[0:1], v[118:119]
	v_mul_f64_e32 v[24:25], s[4:5], v[144:145]
	v_mul_f64_e32 v[26:27], -0.5, v[116:117]
	v_mul_f64_e32 v[32:33], -0.5, v[42:43]
	v_add_f64_e32 v[36:37], v[126:127], v[36:37]
	v_fma_f64 v[90:91], v[140:141], s[0:1], v[28:29]
	v_fma_f64 v[122:123], v[106:107], s[4:5], v[30:31]
	;; [unrolled: 1-line block ×4, first 2 shown]
	v_fma_f64 v[44:45], v[130:131], -0.5, v[44:45]
	v_fma_f64 v[60:61], v[48:49], s[4:5], v[34:35]
	v_fma_f64 v[48:49], v[48:49], s[0:1], v[34:35]
	;; [unrolled: 1-line block ×3, first 2 shown]
	v_mul_f64_e32 v[28:29], s[0:1], v[124:125]
	v_fma_f64 v[134:135], v[14:15], s[4:5], v[22:23]
	v_mul_f64_e32 v[34:35], -0.5, v[20:21]
	v_fma_f64 v[46:47], v[136:137], -0.5, v[46:47]
	v_add_f64_e64 v[14:15], v[52:53], -v[112:113]
	v_mul_f64_e32 v[30:31], s[4:5], v[128:129]
	v_mul_f64_e32 v[22:23], -0.5, v[18:19]
	v_mul_f64_e32 v[136:137], s[0:1], v[88:89]
	v_mul_f64_e32 v[140:141], s[4:5], v[138:139]
	v_mul_f64_e32 v[142:143], -0.5, v[84:85]
	v_fma_f64 v[94:95], v[104:105], s[0:1], v[94:95]
	v_mul_f64_e32 v[104:105], -0.5, v[86:87]
	v_fma_f64 v[120:121], v[120:121], 0.5, v[102:103]
	v_lshrrev_b16 v103, 11, v72
	v_fma_f64 v[98:99], v[98:99], 0.5, v[146:147]
	v_fma_f64 v[58:59], v[58:59], s[4:5], v[10:11]
	v_mul_u32_u24_e32 v72, 0x240, v78
	v_mul_u32_u24_e32 v78, 0x240, v80
	v_mul_lo_u16 v10, v103, 36
	v_fma_f64 v[80:81], v[144:145], 0.5, v[12:13]
	v_fma_f64 v[118:119], v[118:119], 0.5, v[24:25]
	v_and_b32_e32 v11, 0xffff, v70
	v_fma_f64 v[144:145], v[42:43], s[0:1], v[26:27]
	v_sub_nc_u16 v10, v64, v10
	v_fma_f64 v[116:117], v[116:117], s[4:5], v[32:33]
	v_add_f64_e64 v[32:33], v[36:37], -v[96:97]
	v_mul_u32_u24_e32 v70, 0x240, v11
	v_add_f64_e32 v[26:27], v[38:39], v[108:109]
	v_and_b32_e32 v102, 0xff, v10
	v_add_f64_e32 v[10:11], v[52:53], v[112:113]
	v_fma_f64 v[112:113], v[148:149], s[4:5], v[0:1]
	v_fma_f64 v[0:1], v[148:149], s[0:1], v[0:1]
	v_fma_f64 v[128:129], v[128:129], 0.5, v[28:29]
	v_fma_f64 v[146:147], v[16:17], s[0:1], v[44:45]
	v_fma_f64 v[150:151], v[18:19], s[4:5], v[34:35]
	;; [unrolled: 1-line block ×4, first 2 shown]
	v_add_f64_e32 v[28:29], v[36:37], v[96:97]
	v_add_f64_e32 v[12:13], v[110:111], v[114:115]
	v_add_f64_e64 v[16:17], v[110:111], -v[114:115]
	v_add_f64_e32 v[18:19], v[56:57], v[92:93]
	v_fma_f64 v[124:125], v[124:125], 0.5, v[30:31]
	v_fma_f64 v[148:149], v[20:21], s[0:1], v[22:23]
	v_add_f64_e64 v[30:31], v[38:39], -v[108:109]
	v_add_f64_e64 v[22:23], v[56:57], -v[92:93]
	v_fma_f64 v[136:137], v[138:139], 0.5, v[136:137]
	v_fma_f64 v[138:139], v[88:89], 0.5, v[140:141]
	v_fma_f64 v[140:141], v[40:41], s[0:1], v[46:47]
	v_fma_f64 v[142:143], v[86:87], s[0:1], v[142:143]
	;; [unrolled: 1-line block ×3, first 2 shown]
	v_add_f64_e32 v[34:35], v[50:51], v[120:121]
	v_add_f64_e32 v[42:43], v[54:55], v[94:95]
	;; [unrolled: 1-line block ×4, first 2 shown]
	v_add_f64_e64 v[38:39], v[50:51], -v[120:121]
	v_add_f64_e64 v[40:41], v[60:61], -v[98:99]
	;; [unrolled: 1-line block ×4, first 2 shown]
	v_add_f64_e32 v[50:51], v[90:91], v[80:81]
	v_add_f64_e32 v[52:53], v[122:123], v[118:119]
	;; [unrolled: 1-line block ×3, first 2 shown]
	v_add_f64_e64 v[54:55], v[90:91], -v[80:81]
	v_add_f64_e32 v[60:61], v[106:107], v[116:117]
	v_add_f64_e64 v[56:57], v[122:123], -v[118:119]
	v_add_f64_e64 v[83:84], v[126:127], -v[144:145]
	;; [unrolled: 1-line block ×3, first 2 shown]
	v_add_f64_e32 v[20:21], v[62:63], v[132:133]
	v_add_f64_e64 v[24:25], v[62:63], -v[132:133]
	v_lshlrev_b32_e32 v62, 4, v77
	v_lshlrev_b32_e32 v63, 4, v79
	v_add_f64_e32 v[87:88], v[130:131], v[128:129]
	v_add_f64_e64 v[91:92], v[130:131], -v[128:129]
	v_add_f64_e32 v[97:98], v[0:1], v[150:151]
	v_add_f64_e64 v[106:107], v[0:1], -v[150:151]
	v_lshlrev_b32_e32 v0, 4, v71
	v_mul_u32_u24_e32 v1, 5, v102
	v_lshlrev_b32_e32 v71, 4, v82
	v_and_b32_e32 v103, 0xffff, v103
	v_add_f64_e32 v[89:90], v[112:113], v[124:125]
	v_add_f64_e32 v[95:96], v[134:135], v[148:149]
	v_add_f64_e64 v[93:94], v[112:113], -v[124:125]
	v_add_f64_e64 v[104:105], v[134:135], -v[148:149]
	v_add_f64_e32 v[108:109], v[146:147], v[136:137]
	v_add_f64_e32 v[110:111], v[152:153], v[138:139]
	v_add_f64_e64 v[112:113], v[146:147], -v[136:137]
	v_add_f64_e32 v[116:117], v[154:155], v[142:143]
	v_add_f64_e32 v[118:119], v[140:141], v[156:157]
	v_add_f64_e64 v[114:115], v[152:153], -v[138:139]
	v_add_f64_e64 v[120:121], v[154:155], -v[142:143]
	;; [unrolled: 1-line block ×3, first 2 shown]
	v_add3_u32 v0, 0, v70, v0
	v_lshlrev_b32_e32 v70, 4, v1
	v_add3_u32 v1, 0, v72, v62
	v_add3_u32 v62, 0, v78, v63
	;; [unrolled: 1-line block ×3, first 2 shown]
	ds_store_b128 v0, v[2:5]
	ds_store_b128 v0, v[34:37] offset:96
	ds_store_b128 v0, v[6:9] offset:288
	ds_store_b128 v0, v[42:45] offset:192
	ds_store_b128 v0, v[38:41] offset:384
	ds_store_b128 v0, v[46:49] offset:480
	ds_store_b128 v1, v[10:13]
	ds_store_b128 v1, v[50:53] offset:96
	ds_store_b128 v1, v[58:61] offset:192
	ds_store_b128 v1, v[14:17] offset:288
	ds_store_b128 v1, v[54:57] offset:384
	ds_store_b128 v1, v[83:86] offset:480
	;; [unrolled: 6-line block ×4, first 2 shown]
	global_wb scope:SCOPE_SE
	s_wait_dscnt 0x0
	s_barrier_signal -1
	s_barrier_wait -1
	global_inv scope:SCOPE_SE
	s_clause 0x1
	global_load_b128 v[0:3], v70, s[8:9] offset:480
	global_load_b128 v[16:19], v70, s[8:9] offset:496
	v_mul_u32_u24_e32 v4, 0xe38f, v73
	s_clause 0x1
	global_load_b128 v[12:15], v70, s[8:9] offset:512
	global_load_b128 v[8:11], v70, s[8:9] offset:528
	v_mul_u32_u24_e32 v40, 0xe38f, v75
	v_mul_u32_u24_e32 v103, 0xd80, v103
	v_lshrrev_b32_e32 v105, 21, v4
	s_delay_alu instid0(VALU_DEP_3) | instskip(NEXT) | instid1(VALU_DEP_2)
	v_lshrrev_b32_e32 v107, 21, v40
	v_mul_lo_u16 v4, v105, 36
	v_mul_u32_u24_e32 v105, 0xd80, v105
	s_delay_alu instid0(VALU_DEP_3) | instskip(SKIP_1) | instid1(VALU_DEP_4)
	v_mul_lo_u16 v40, v107, 36
	v_mul_u32_u24_e32 v107, 0xd80, v107
	v_sub_nc_u16 v4, v65, v4
	s_delay_alu instid0(VALU_DEP_3) | instskip(NEXT) | instid1(VALU_DEP_2)
	v_sub_nc_u16 v40, v74, v40
	v_and_b32_e32 v104, 0xffff, v4
	s_delay_alu instid0(VALU_DEP_2) | instskip(NEXT) | instid1(VALU_DEP_2)
	v_and_b32_e32 v106, 0xffff, v40
	v_mul_u32_u24_e32 v4, 5, v104
	s_delay_alu instid0(VALU_DEP_2) | instskip(NEXT) | instid1(VALU_DEP_2)
	v_mul_u32_u24_e32 v40, 5, v106
	v_lshlrev_b32_e32 v28, 4, v4
	s_clause 0x5
	global_load_b128 v[4:7], v70, s[8:9] offset:544
	global_load_b128 v[24:27], v28, s[8:9] offset:480
	;; [unrolled: 1-line block ×6, first 2 shown]
	v_lshlrev_b32_e32 v60, 4, v40
	ds_load_b128 v[56:59], v100 offset:9216
	global_load_b128 v[40:43], v60, s[8:9] offset:480
	ds_load_b128 v[52:55], v100 offset:18432
	ds_load_b128 v[48:51], v100 offset:27648
	ds_load_b128 v[44:47], v100 offset:36864
	ds_load_b128 v[84:87], v100 offset:6912
	global_load_b128 v[88:91], v60, s[8:9] offset:496
	ds_load_b128 v[70:73], v100 offset:16128
	ds_load_b128 v[77:80], v100 offset:25344
	;; [unrolled: 1-line block ×9, first 2 shown]
	s_wait_loadcnt_dscnt 0xb0d
	v_mul_f64_e32 v[61:62], v[58:59], v[2:3]
	v_mul_f64_e32 v[2:3], v[56:57], v[2:3]
	s_wait_loadcnt_dscnt 0xa0c
	v_mul_f64_e32 v[74:75], v[54:55], v[18:19]
	v_mul_f64_e32 v[18:19], v[52:53], v[18:19]
	;; [unrolled: 3-line block ×3, first 2 shown]
	v_mul_f64_e32 v[81:82], v[50:51], v[14:15]
	v_mul_f64_e32 v[130:131], v[48:49], v[14:15]
	v_mul_u32_u24_e32 v10, 0xe38f, v76
	s_delay_alu instid0(VALU_DEP_1) | instskip(NEXT) | instid1(VALU_DEP_1)
	v_lshrrev_b32_e32 v108, 21, v10
	v_mul_lo_u16 v10, v108, 36
	s_wait_loadcnt_dscnt 0x706
	v_mul_f64_e32 v[136:137], v[94:95], v[6:7]
	v_mul_f64_e32 v[138:139], v[92:93], v[6:7]
	s_wait_loadcnt_dscnt 0x604
	v_mul_f64_e32 v[140:141], v[112:113], v[26:27]
	v_mul_f64_e32 v[26:27], v[110:111], v[26:27]
	;; [unrolled: 3-line block ×3, first 2 shown]
	v_sub_nc_u16 v6, v101, v10
	v_fma_f64 v[61:62], v[56:57], v[0:1], -v[61:62]
	v_fma_f64 v[142:143], v[58:59], v[0:1], v[2:3]
	global_load_b128 v[0:3], v60, s[8:9] offset:512
	v_fma_f64 v[74:75], v[52:53], v[16:17], -v[74:75]
	v_fma_f64 v[144:145], v[54:55], v[16:17], v[18:19]
	global_load_b128 v[14:17], v60, s[8:9] offset:544
	v_mul_f64_e32 v[18:19], v[116:117], v[22:23]
	v_mul_f64_e32 v[56:57], v[114:115], v[22:23]
	v_fma_f64 v[132:133], v[44:45], v[8:9], -v[132:133]
	v_fma_f64 v[134:135], v[46:47], v[8:9], v[134:135]
	v_and_b32_e32 v109, 0xffff, v6
	ds_load_b128 v[6:9], v100 offset:39168
	v_fma_f64 v[81:82], v[48:49], v[12:13], -v[81:82]
	v_fma_f64 v[130:131], v[50:51], v[12:13], v[130:131]
	ds_load_b128 v[48:51], v100 offset:48384
	v_mul_u32_u24_e32 v22, 5, v109
	ds_load_b128 v[52:55], v100 offset:23040
	ds_load_b128 v[10:13], v100 offset:32256
	v_lshlrev_b32_e32 v63, 4, v22
	global_load_b128 v[44:47], v63, s[8:9] offset:512
	v_fma_f64 v[92:93], v[92:93], v[4:5], -v[136:137]
	v_fma_f64 v[94:95], v[94:95], v[4:5], v[138:139]
	v_fma_f64 v[110:111], v[110:111], v[24:25], -v[140:141]
	v_fma_f64 v[112:113], v[112:113], v[24:25], v[26:27]
	ds_load_b128 v[22:25], v100 offset:41472
	s_wait_loadcnt_dscnt 0x604
	v_mul_f64_e32 v[4:5], v[8:9], v[34:35]
	v_mul_f64_e32 v[26:27], v[6:7], v[34:35]
	v_fma_f64 v[120:121], v[120:121], v[36:37], v[38:39]
	v_fma_f64 v[118:119], v[118:119], v[36:37], -v[146:147]
	global_load_b128 v[34:37], v60, s[8:9] offset:528
	v_fma_f64 v[114:115], v[114:115], v[20:21], -v[18:19]
	v_fma_f64 v[116:117], v[116:117], v[20:21], v[56:57]
	global_load_b128 v[18:21], v63, s[8:9] offset:544
	ds_load_b128 v[56:59], v100 offset:50688
	s_wait_loadcnt_dscnt 0x704
	v_mul_f64_e32 v[38:39], v[50:51], v[30:31]
	v_mul_f64_e32 v[136:137], v[48:49], v[30:31]
	v_fma_f64 v[138:139], v[6:7], v[32:33], -v[4:5]
	v_fma_f64 v[140:141], v[8:9], v[32:33], v[26:27]
	s_clause 0x1
	global_load_b128 v[4:7], v63, s[8:9] offset:480
	global_load_b128 v[30:33], v63, s[8:9] offset:496
	s_wait_loadcnt 0x8
	v_mul_f64_e32 v[8:9], v[124:125], v[42:43]
	v_fma_f64 v[146:147], v[48:49], v[28:29], -v[38:39]
	v_fma_f64 v[136:137], v[50:51], v[28:29], v[136:137]
	global_load_b128 v[26:29], v63, s[8:9] offset:528
	v_mul_f64_e32 v[38:39], v[122:123], v[42:43]
	s_wait_loadcnt_dscnt 0x803
	v_mul_f64_e32 v[42:43], v[54:55], v[90:91]
	v_fma_f64 v[122:123], v[122:123], v[40:41], -v[8:9]
	v_mul_f64_e32 v[8:9], v[52:53], v[90:91]
	s_delay_alu instid0(VALU_DEP_4) | instskip(NEXT) | instid1(VALU_DEP_4)
	v_fma_f64 v[124:125], v[124:125], v[40:41], v[38:39]
	v_fma_f64 v[42:43], v[52:53], v[88:89], -v[42:43]
	ds_load_b128 v[38:41], v100 offset:52992
	v_fma_f64 v[52:53], v[54:55], v[88:89], v[8:9]
	s_wait_loadcnt_dscnt 0x703
	v_mul_f64_e32 v[48:49], v[12:13], v[2:3]
	v_mul_f64_e32 v[2:3], v[10:11], v[2:3]
	s_wait_loadcnt_dscnt 0x601
	v_mul_f64_e32 v[50:51], v[58:59], v[16:17]
	v_mul_f64_e32 v[8:9], v[56:57], v[16:17]
	s_wait_loadcnt 0x5
	v_mul_f64_e32 v[16:17], v[98:99], v[46:47]
	v_mul_f64_e32 v[46:47], v[96:97], v[46:47]
	v_fma_f64 v[10:11], v[10:11], v[0:1], -v[48:49]
	v_fma_f64 v[12:13], v[12:13], v[0:1], v[2:3]
	ds_load_b128 v[0:3], v100
	v_fma_f64 v[54:55], v[56:57], v[14:15], -v[50:51]
	v_fma_f64 v[56:57], v[58:59], v[14:15], v[8:9]
	s_wait_loadcnt 0x4
	v_mul_f64_e32 v[14:15], v[24:25], v[36:37]
	s_wait_loadcnt_dscnt 0x301
	v_mul_f64_e32 v[48:49], v[40:41], v[20:21]
	v_mul_f64_e32 v[8:9], v[38:39], v[20:21]
	;; [unrolled: 1-line block ×3, first 2 shown]
	v_add_f64_e32 v[58:59], v[120:121], v[136:137]
	v_fma_f64 v[16:17], v[96:97], v[44:45], -v[16:17]
	v_fma_f64 v[44:45], v[98:99], v[44:45], v[46:47]
	s_wait_loadcnt 0x2
	v_mul_f64_e32 v[36:37], v[72:73], v[6:7]
	v_mul_f64_e32 v[6:7], v[70:71], v[6:7]
	s_wait_loadcnt 0x1
	v_mul_f64_e32 v[46:47], v[79:80], v[32:33]
	v_mul_f64_e32 v[32:33], v[77:78], v[32:33]
	v_add_f64_e64 v[98:99], v[12:13], -v[56:57]
	v_fma_f64 v[96:97], v[22:23], v[34:35], -v[14:15]
	v_fma_f64 v[88:89], v[38:39], v[18:19], -v[48:49]
	v_fma_f64 v[90:91], v[40:41], v[18:19], v[8:9]
	v_add_f64_e32 v[18:19], v[130:131], v[94:95]
	v_add_f64_e32 v[40:41], v[144:145], v[134:135]
	s_wait_loadcnt 0x0
	v_mul_f64_e32 v[38:39], v[128:129], v[28:29]
	v_mul_f64_e32 v[8:9], v[126:127], v[28:29]
	v_add_f64_e32 v[28:29], v[74:75], v[132:133]
	v_add_f64_e32 v[14:15], v[81:82], v[92:93]
	v_fma_f64 v[148:149], v[24:25], v[34:35], v[20:21]
	v_add_f64_e32 v[22:23], v[116:117], v[140:141]
	v_add_f64_e32 v[34:35], v[118:119], v[146:147]
	;; [unrolled: 1-line block ×3, first 2 shown]
	ds_load_b128 v[48:51], v100 offset:4608
	v_fma_f64 v[58:59], v[58:59], -0.5, v[112:113]
	v_fma_f64 v[24:25], v[70:71], v[4:5], -v[36:37]
	v_fma_f64 v[36:37], v[72:73], v[4:5], v[6:7]
	v_fma_f64 v[46:47], v[77:78], v[30:31], -v[46:47]
	v_add_f64_e32 v[70:71], v[12:13], v[56:57]
	v_fma_f64 v[72:73], v[79:80], v[30:31], v[32:33]
	v_add_f64_e32 v[30:31], v[10:11], v[54:55]
	ds_load_b128 v[4:7], v100 offset:2304
	v_add_f64_e64 v[78:79], v[81:82], -v[92:93]
	s_wait_dscnt 0x2
	v_add_f64_e32 v[32:33], v[0:1], v[74:75]
	v_add_f64_e32 v[76:77], v[16:17], v[88:89]
	;; [unrolled: 1-line block ×3, first 2 shown]
	v_fma_f64 v[18:19], v[18:19], -0.5, v[142:143]
	v_add_f64_e32 v[82:83], v[142:143], v[130:131]
	v_fma_f64 v[126:127], v[126:127], v[26:27], -v[38:39]
	v_add_f64_e32 v[38:39], v[44:45], v[90:91]
	v_fma_f64 v[142:143], v[28:29], -0.5, v[0:1]
	v_fma_f64 v[150:151], v[40:41], -0.5, v[2:3]
	;; [unrolled: 1-line block ×3, first 2 shown]
	v_add_f64_e64 v[40:41], v[130:131], -v[94:95]
	v_fma_f64 v[128:129], v[128:129], v[26:27], v[8:9]
	v_add_f64_e32 v[26:27], v[2:3], v[144:145]
	v_fma_f64 v[34:35], v[34:35], -0.5, v[110:111]
	v_add_f64_e32 v[60:61], v[110:111], v[118:119]
	v_add_f64_e64 v[110:111], v[144:145], -v[134:135]
	v_add_f64_e64 v[144:145], v[10:11], -v[54:55]
	;; [unrolled: 1-line block ×3, first 2 shown]
	s_wait_dscnt 0x0
	v_add_f64_e32 v[0:1], v[4:5], v[114:115]
	v_add_f64_e32 v[2:3], v[6:7], v[116:117]
	v_fma_f64 v[8:9], v[22:23], -0.5, v[6:7]
	v_add_f64_e64 v[6:7], v[120:121], -v[136:137]
	v_add_f64_e64 v[22:23], v[118:119], -v[146:147]
	v_fma_f64 v[130:131], v[20:21], -0.5, v[4:5]
	v_add_f64_e32 v[4:5], v[112:113], v[120:121]
	v_add_f64_e32 v[120:121], v[124:125], v[12:13]
	v_add_f64_e64 v[160:161], v[44:45], -v[90:91]
	v_add_f64_e64 v[12:13], v[114:115], -v[138:139]
	v_add_f64_e32 v[62:63], v[42:43], v[96:97]
	v_add_f64_e32 v[112:113], v[48:49], v[42:43]
	;; [unrolled: 1-line block ×3, first 2 shown]
	v_add_f64_e64 v[118:119], v[74:75], -v[132:133]
	v_add_f64_e32 v[74:75], v[52:53], v[148:149]
	v_fma_f64 v[70:71], v[70:71], -0.5, v[124:125]
	v_add_f64_e32 v[156:157], v[36:37], v[44:45]
	v_fma_f64 v[124:125], v[30:31], -0.5, v[122:123]
	v_add_f64_e32 v[122:123], v[122:123], v[10:11]
	v_add_f64_e32 v[152:153], v[50:51], v[52:53]
	;; [unrolled: 1-line block ×3, first 2 shown]
	v_fma_f64 v[76:77], v[76:77], -0.5, v[24:25]
	v_add_f64_e32 v[92:93], v[80:81], v[92:93]
	v_fma_f64 v[16:17], v[78:79], s[4:5], v[18:19]
	v_add_f64_e32 v[94:95], v[82:83], v[94:95]
	v_add_f64_e32 v[80:81], v[46:47], v[126:127]
	v_fma_f64 v[154:155], v[38:39], -0.5, v[36:37]
	v_fma_f64 v[36:37], v[78:79], s[0:1], v[18:19]
	v_add_f64_e64 v[116:117], v[116:117], -v[140:141]
	v_add_f64_e64 v[44:45], v[46:47], -v[126:127]
	v_fma_f64 v[20:21], v[40:41], s[4:5], v[28:29]
	v_add_f64_e32 v[162:163], v[72:73], v[128:129]
	v_add_f64_e32 v[134:135], v[26:27], v[134:135]
	v_add_f64_e64 v[26:27], v[72:73], -v[128:129]
	v_add_f64_e32 v[78:79], v[60:61], v[146:147]
	v_add_f64_e64 v[38:39], v[42:43], -v[96:97]
	global_wb scope:SCOPE_SE
	s_barrier_signal -1
	v_add_f64_e32 v[14:15], v[0:1], v[138:139]
	v_fma_f64 v[138:139], v[40:41], s[0:1], v[28:29]
	v_add_f64_e32 v[0:1], v[84:85], v[46:47]
	v_fma_f64 v[28:29], v[6:7], s[0:1], v[34:35]
	v_fma_f64 v[30:31], v[22:23], s[4:5], v[58:59]
	v_add_f64_e32 v[10:11], v[2:3], v[140:141]
	v_add_f64_e32 v[2:3], v[86:87], v[72:73]
	v_fma_f64 v[18:19], v[6:7], s[4:5], v[34:35]
	v_fma_f64 v[22:23], v[22:23], s[0:1], v[58:59]
	v_add_f64_e64 v[40:41], v[52:53], -v[148:149]
	v_add_f64_e32 v[56:57], v[120:121], v[56:57]
	v_add_f64_e32 v[42:43], v[4:5], v[136:137]
	s_barrier_wait -1
	global_inv scope:SCOPE_SE
	v_fma_f64 v[82:83], v[74:75], -0.5, v[50:51]
	v_fma_f64 v[34:35], v[144:145], s[4:5], v[70:71]
	v_fma_f64 v[58:59], v[144:145], s[0:1], v[70:71]
	;; [unrolled: 1-line block ×4, first 2 shown]
	v_fma_f64 v[98:99], v[62:63], -0.5, v[48:49]
	v_add_f64_e32 v[48:49], v[112:113], v[96:97]
	v_fma_f64 v[70:71], v[160:161], s[0:1], v[76:77]
	v_fma_f64 v[46:47], v[160:161], s[4:5], v[76:77]
	v_mul_f64_e32 v[124:125], s[0:1], v[16:17]
	v_add_f64_e32 v[74:75], v[114:115], v[88:89]
	v_add_f64_e32 v[54:55], v[122:123], v[54:55]
	v_fma_f64 v[52:53], v[158:159], s[4:5], v[154:155]
	v_fma_f64 v[72:73], v[158:159], s[0:1], v[154:155]
	v_mul_f64_e32 v[120:121], -0.5, v[36:37]
	v_add_f64_e64 v[4:5], v[132:133], -v[92:93]
	v_mul_f64_e32 v[114:115], -0.5, v[20:21]
	v_fma_f64 v[84:85], v[80:81], -0.5, v[84:85]
	v_add_f64_e64 v[6:7], v[134:135], -v[94:95]
	v_fma_f64 v[80:81], v[162:163], -0.5, v[86:87]
	v_fma_f64 v[86:87], v[110:111], s[0:1], v[142:143]
	v_fma_f64 v[88:89], v[118:119], s[4:5], v[150:151]
	v_add_f64_e32 v[76:77], v[156:157], v[90:91]
	v_fma_f64 v[96:97], v[116:117], s[0:1], v[130:131]
	v_fma_f64 v[90:91], v[116:117], s[4:5], v[130:131]
	v_mul_f64_e32 v[112:113], s[4:5], v[138:139]
	v_add_f64_e32 v[60:61], v[0:1], v[126:127]
	v_mul_f64_e32 v[126:127], s[4:5], v[28:29]
	v_mul_f64_e32 v[122:123], s[0:1], v[30:31]
	v_add_f64_e32 v[0:1], v[132:133], v[92:93]
	v_add_f64_e32 v[62:63], v[2:3], v[128:129]
	v_mul_f64_e32 v[128:129], -0.5, v[18:19]
	v_mul_f64_e32 v[132:133], -0.5, v[22:23]
	v_add_f64_e32 v[2:3], v[134:135], v[94:95]
	v_fma_f64 v[92:93], v[110:111], s[4:5], v[142:143]
	v_fma_f64 v[94:95], v[118:119], s[0:1], v[150:151]
	v_add_f64_e32 v[50:51], v[152:153], v[148:149]
	v_fma_f64 v[142:143], v[12:13], s[4:5], v[8:9]
	v_fma_f64 v[8:9], v[12:13], s[0:1], v[8:9]
	v_mul_f64_e32 v[134:135], s[0:1], v[34:35]
	v_mul_f64_e32 v[118:119], -0.5, v[58:59]
	v_mul_f64_e32 v[136:137], s[4:5], v[32:33]
	v_mul_f64_e32 v[110:111], -0.5, v[24:25]
	v_fma_f64 v[144:145], v[40:41], s[0:1], v[98:99]
	v_add_f64_e64 v[12:13], v[14:15], -v[78:79]
	v_mul_f64_e32 v[130:131], s[4:5], v[70:71]
	v_mul_f64_e32 v[140:141], -0.5, v[46:47]
	v_fma_f64 v[124:125], v[138:139], 0.5, v[124:125]
	v_fma_f64 v[146:147], v[38:39], s[4:5], v[82:83]
	v_fma_f64 v[98:99], v[40:41], s[4:5], v[98:99]
	v_mul_f64_e32 v[116:117], s[0:1], v[52:53]
	v_mul_f64_e32 v[138:139], -0.5, v[72:73]
	v_fma_f64 v[120:121], v[20:21], s[4:5], v[120:121]
	v_add_f64_e64 v[20:21], v[48:49], -v[54:55]
	v_fma_f64 v[114:115], v[36:37], s[0:1], v[114:115]
	v_fma_f64 v[148:149], v[26:27], s[0:1], v[84:85]
	;; [unrolled: 1-line block ×5, first 2 shown]
	v_mul_u32_u24_e32 v156, 3, v64
	v_fma_f64 v[112:113], v[16:17], 0.5, v[112:113]
	v_add_f64_e32 v[16:17], v[48:49], v[54:55]
	v_fma_f64 v[126:127], v[30:31], 0.5, v[126:127]
	v_fma_f64 v[122:123], v[28:29], 0.5, v[122:123]
	v_add_f64_e32 v[28:29], v[14:15], v[78:79]
	v_add_f64_e32 v[30:31], v[10:11], v[42:43]
	v_fma_f64 v[128:129], v[22:23], s[0:1], v[128:129]
	v_fma_f64 v[132:133], v[18:19], s[4:5], v[132:133]
	v_add_f64_e64 v[14:15], v[10:11], -v[42:43]
	v_add_f64_e32 v[26:27], v[62:63], v[76:77]
	v_lshlrev_b32_e32 v10, 4, v102
	v_add_f64_e32 v[18:19], v[50:51], v[56:57]
	v_add_f64_e64 v[22:23], v[50:51], -v[56:57]
	v_lshlrev_b32_e32 v11, 4, v104
	v_fma_f64 v[78:79], v[32:33], 0.5, v[134:135]
	v_fma_f64 v[118:119], v[24:25], s[4:5], v[118:119]
	v_fma_f64 v[134:135], v[34:35], 0.5, v[136:137]
	v_fma_f64 v[136:137], v[38:39], s[0:1], v[82:83]
	v_fma_f64 v[110:111], v[58:59], s[0:1], v[110:111]
	v_add_f64_e32 v[24:25], v[60:61], v[74:75]
	v_fma_f64 v[130:131], v[52:53], 0.5, v[130:131]
	v_fma_f64 v[140:141], v[72:73], s[0:1], v[140:141]
	v_add_f64_e32 v[36:37], v[86:87], v[124:125]
	v_add_f64_e64 v[40:41], v[86:87], -v[124:125]
	v_add_f64_e64 v[32:33], v[60:61], -v[74:75]
	v_fma_f64 v[116:117], v[70:71], 0.5, v[116:117]
	v_fma_f64 v[138:139], v[46:47], s[4:5], v[138:139]
	v_add_f64_e32 v[46:47], v[94:95], v[120:121]
	v_add_f64_e64 v[50:51], v[94:95], -v[120:121]
	v_add_f64_e32 v[44:45], v[92:93], v[114:115]
	v_add_f64_e64 v[48:49], v[92:93], -v[114:115]
	v_add_f64_e64 v[34:35], v[62:63], -v[76:77]
	v_add3_u32 v10, 0, v103, v10
	v_add3_u32 v11, 0, v105, v11
	v_cmp_gt_u32_e64 s0, 0x48, v64
	v_add_f64_e32 v[38:39], v[88:89], v[112:113]
	v_add_f64_e64 v[42:43], v[88:89], -v[112:113]
	v_add_f64_e32 v[54:55], v[142:143], v[126:127]
	v_add_f64_e32 v[52:53], v[96:97], v[122:123]
	v_add_f64_e64 v[56:57], v[96:97], -v[122:123]
	v_add_f64_e64 v[58:59], v[142:143], -v[126:127]
	v_add_f64_e32 v[60:61], v[90:91], v[128:129]
	v_add_f64_e32 v[62:63], v[8:9], v[132:133]
	v_add_f64_e64 v[70:71], v[90:91], -v[128:129]
	v_add_f64_e64 v[72:73], v[8:9], -v[132:133]
	v_mul_u32_u24_e32 v9, 0xd80, v108
	v_lshlrev_b32_e32 v8, 4, v156
	v_add_f64_e32 v[74:75], v[144:145], v[78:79]
	v_add_f64_e64 v[78:79], v[144:145], -v[78:79]
	v_add_f64_e32 v[76:77], v[146:147], v[134:135]
	v_add_f64_e32 v[84:85], v[136:137], v[118:119]
	;; [unrolled: 1-line block ×3, first 2 shown]
	v_add_f64_e64 v[80:81], v[146:147], -v[134:135]
	v_add_f64_e64 v[86:87], v[98:99], -v[110:111]
	;; [unrolled: 1-line block ×3, first 2 shown]
	v_add_f64_e32 v[92:93], v[150:151], v[130:131]
	v_add_f64_e32 v[110:111], v[152:153], v[140:141]
	v_add_f64_e64 v[96:97], v[150:151], -v[130:131]
	v_add_f64_e32 v[90:91], v[148:149], v[116:117]
	v_add_f64_e32 v[112:113], v[154:155], v[138:139]
	v_add_f64_e64 v[94:95], v[148:149], -v[116:117]
	v_add_f64_e64 v[114:115], v[152:153], -v[140:141]
	;; [unrolled: 1-line block ×3, first 2 shown]
	v_lshlrev_b32_e32 v99, 4, v109
	v_lshlrev_b32_e32 v98, 4, v106
	s_delay_alu instid0(VALU_DEP_2) | instskip(NEXT) | instid1(VALU_DEP_2)
	v_add3_u32 v9, 0, v9, v99
	v_add3_u32 v98, 0, v107, v98
	ds_store_b128 v10, v[0:3]
	ds_store_b128 v10, v[36:39] offset:576
	ds_store_b128 v10, v[4:7] offset:1728
	ds_store_b128 v10, v[44:47] offset:1152
	ds_store_b128 v10, v[40:43] offset:2304
	ds_store_b128 v10, v[48:51] offset:2880
	ds_store_b128 v11, v[28:31]
	ds_store_b128 v11, v[52:55] offset:576
	ds_store_b128 v11, v[60:63] offset:1152
	ds_store_b128 v11, v[12:15] offset:1728
	ds_store_b128 v11, v[56:59] offset:2304
	ds_store_b128 v11, v[70:73] offset:2880
	;; [unrolled: 6-line block ×4, first 2 shown]
	global_wb scope:SCOPE_SE
	s_wait_dscnt 0x0
	s_barrier_signal -1
	s_barrier_wait -1
	global_inv scope:SCOPE_SE
	s_clause 0x1
	global_load_b128 v[9:12], v8, s[8:9] offset:3360
	global_load_b128 v[13:16], v8, s[8:9] offset:3376
	v_add_nc_u32_e32 v0, 0xffffffb8, v64
	global_load_b128 v[17:20], v8, s[8:9] offset:3392
	v_mov_b32_e32 v4, 0
	v_add_nc_u16 v7, v64, 0x2d0
	s_wait_alu 0xf1ff
	v_cndmask_b32_e64 v0, v0, v65, s0
	s_delay_alu instid0(VALU_DEP_1) | instskip(SKIP_1) | instid1(VALU_DEP_2)
	v_mul_i32_i24_e32 v3, 3, v0
	v_lshlrev_b32_e32 v0, 4, v0
	v_lshlrev_b64_e32 v[1:2], 4, v[3:4]
	v_lshrrev_b16 v3, 3, v101
	s_delay_alu instid0(VALU_DEP_2) | instskip(SKIP_1) | instid1(VALU_DEP_3)
	v_add_co_u32 v1, s0, s8, v1
	s_wait_alu 0xf1ff
	v_add_co_ci_u32_e64 v2, s0, s9, v2, s0
	s_clause 0x1
	global_load_b128 v[21:24], v[1:2], off offset:3360
	global_load_b128 v[25:28], v[1:2], off offset:3376
	v_and_b32_e32 v3, 0xffff, v3
	s_clause 0x3
	global_load_b128 v[29:32], v[1:2], off offset:3392
	global_load_b128 v[33:36], v8, s[8:9] offset:6816
	global_load_b128 v[37:40], v8, s[8:9] offset:6832
	;; [unrolled: 1-line block ×3, first 2 shown]
	v_mul_u32_u24_e32 v1, 0x12f7, v3
	v_add_nc_u16 v2, v64, 0x240
	v_cmp_lt_u32_e64 s0, 0x47, v64
	s_delay_alu instid0(VALU_DEP_3) | instskip(NEXT) | instid1(VALU_DEP_3)
	v_lshrrev_b32_e32 v1, 17, v1
	v_lshrrev_b16 v5, 3, v2
	s_delay_alu instid0(VALU_DEP_2) | instskip(NEXT) | instid1(VALU_DEP_1)
	v_mul_lo_u16 v1, 0xd8, v1
	v_sub_nc_u16 v1, v101, v1
	s_delay_alu instid0(VALU_DEP_1) | instskip(NEXT) | instid1(VALU_DEP_1)
	v_and_b32_e32 v1, 0xffff, v1
	v_mul_u32_u24_e32 v3, 3, v1
	v_lshl_add_u32 v1, v1, 4, 0
	s_delay_alu instid0(VALU_DEP_2)
	v_lshlrev_b32_e32 v6, 4, v3
	v_and_b32_e32 v3, 0xffff, v5
	v_lshrrev_b16 v5, 3, v7
	s_clause 0x1
	global_load_b128 v[45:48], v6, s[8:9] offset:3360
	global_load_b128 v[49:52], v6, s[8:9] offset:3376
	v_mul_u32_u24_e32 v3, 0x12f7, v3
	v_and_b32_e32 v5, 0xffff, v5
	global_load_b128 v[53:56], v6, s[8:9] offset:3392
	v_lshrrev_b32_e32 v3, 17, v3
	v_mul_u32_u24_e32 v5, 0x12f7, v5
	s_delay_alu instid0(VALU_DEP_2) | instskip(NEXT) | instid1(VALU_DEP_2)
	v_mul_lo_u16 v6, 0xd8, v3
	v_lshrrev_b32_e32 v5, 17, v5
	v_mul_u32_u24_e32 v3, 0x3600, v3
	s_delay_alu instid0(VALU_DEP_3) | instskip(NEXT) | instid1(VALU_DEP_3)
	v_sub_nc_u16 v2, v2, v6
	v_mul_lo_u16 v6, 0xd8, v5
	s_delay_alu instid0(VALU_DEP_2) | instskip(NEXT) | instid1(VALU_DEP_2)
	v_and_b32_e32 v5, 0xffff, v2
	v_sub_nc_u16 v2, v7, v6
	s_delay_alu instid0(VALU_DEP_2) | instskip(NEXT) | instid1(VALU_DEP_2)
	v_mul_u32_u24_e32 v6, 3, v5
	v_and_b32_e32 v2, 0xffff, v2
	v_lshlrev_b32_e32 v5, 4, v5
	s_delay_alu instid0(VALU_DEP_3) | instskip(NEXT) | instid1(VALU_DEP_3)
	v_lshlrev_b32_e32 v6, 4, v6
	v_mul_u32_u24_e32 v7, 3, v2
	s_clause 0x1
	global_load_b128 v[57:60], v6, s[8:9] offset:3360
	global_load_b128 v[70:73], v6, s[8:9] offset:3376
	v_lshlrev_b32_e32 v7, 4, v7
	s_clause 0x3
	global_load_b128 v[74:77], v6, s[8:9] offset:3392
	global_load_b128 v[78:81], v7, s[8:9] offset:3360
	;; [unrolled: 1-line block ×4, first 2 shown]
	ds_load_b128 v[90:93], v100 offset:13824
	ds_load_b128 v[94:97], v100 offset:27648
	;; [unrolled: 1-line block ×10, first 2 shown]
	v_lshl_add_u32 v2, v2, 4, 0
	v_add3_u32 v3, 0, v3, v5
	v_mul_u32_u24_e32 v5, 3, v65
	s_delay_alu instid0(VALU_DEP_1)
	v_lshlrev_b32_e32 v5, 4, v5
	s_wait_loadcnt_dscnt 0x1109
	v_mul_f64_e32 v[6:7], v[92:93], v[11:12]
	v_mul_f64_e32 v[11:12], v[90:91], v[11:12]
	s_wait_loadcnt_dscnt 0x1008
	v_mul_f64_e32 v[61:62], v[96:97], v[15:16]
	v_mul_f64_e32 v[15:16], v[94:95], v[15:16]
	s_wait_loadcnt_dscnt 0xf07
	v_mul_f64_e32 v[98:99], v[103:104], v[19:20]
	v_mul_f64_e32 v[19:20], v[101:102], v[19:20]
	s_wait_loadcnt_dscnt 0xe04
	v_mul_f64_e32 v[133:134], v[115:116], v[23:24]
	v_mul_f64_e32 v[23:24], v[113:114], v[23:24]
	v_fma_f64 v[6:7], v[90:91], v[9:10], -v[6:7]
	v_fma_f64 v[90:91], v[92:93], v[9:10], v[11:12]
	s_wait_loadcnt_dscnt 0xd02
	v_mul_f64_e32 v[92:93], v[123:124], v[27:28]
	v_mul_f64_e32 v[27:28], v[121:122], v[27:28]
	ds_load_b128 v[9:12], v100 offset:32256
	v_fma_f64 v[61:62], v[94:95], v[13:14], -v[61:62]
	v_fma_f64 v[94:95], v[96:97], v[13:14], v[15:16]
	ds_load_b128 v[13:16], v100 offset:46080
	s_wait_loadcnt_dscnt 0xc03
	v_mul_f64_e32 v[96:97], v[127:128], v[31:32]
	v_mul_f64_e32 v[31:32], v[125:126], v[31:32]
	v_fma_f64 v[98:99], v[101:102], v[17:18], -v[98:99]
	v_fma_f64 v[101:102], v[103:104], v[17:18], v[19:20]
	s_wait_loadcnt_dscnt 0xb02
	v_mul_f64_e32 v[103:104], v[131:132], v[35:36]
	v_mul_f64_e32 v[35:36], v[129:130], v[35:36]
	s_wait_loadcnt_dscnt 0xa01
	v_mul_f64_e32 v[135:136], v[11:12], v[39:40]
	v_mul_f64_e32 v[39:40], v[9:10], v[39:40]
	v_fma_f64 v[113:114], v[113:114], v[21:22], -v[133:134]
	v_fma_f64 v[115:116], v[115:116], v[21:22], v[23:24]
	ds_load_b128 v[17:20], v100 offset:20736
	ds_load_b128 v[21:24], v100 offset:34560
	v_fma_f64 v[92:93], v[121:122], v[25:26], -v[92:93]
	v_fma_f64 v[121:122], v[123:124], v[25:26], v[27:28]
	ds_load_b128 v[25:28], v100 offset:48384
	s_wait_loadcnt_dscnt 0x903
	v_mul_f64_e32 v[123:124], v[15:16], v[43:44]
	v_mul_f64_e32 v[43:44], v[13:14], v[43:44]
	v_fma_f64 v[96:97], v[125:126], v[29:30], -v[96:97]
	v_fma_f64 v[125:126], v[127:128], v[29:30], v[31:32]
	ds_load_b128 v[29:32], v100 offset:23040
	s_wait_loadcnt_dscnt 0x803
	v_mul_f64_e32 v[127:128], v[19:20], v[47:48]
	v_mul_f64_e32 v[47:48], v[17:18], v[47:48]
	v_fma_f64 v[103:104], v[129:130], v[33:34], -v[103:104]
	v_fma_f64 v[129:130], v[131:132], v[33:34], v[35:36]
	s_wait_loadcnt_dscnt 0x702
	v_mul_f64_e32 v[131:132], v[23:24], v[51:52]
	v_mul_f64_e32 v[51:52], v[21:22], v[51:52]
	ds_load_b128 v[33:36], v100 offset:36864
	s_wait_loadcnt_dscnt 0x602
	v_mul_f64_e32 v[137:138], v[27:28], v[55:56]
	v_mul_f64_e32 v[55:56], v[25:26], v[55:56]
	v_fma_f64 v[133:134], v[9:10], v[37:38], -v[135:136]
	v_fma_f64 v[135:136], v[11:12], v[37:38], v[39:40]
	ds_load_b128 v[9:12], v100 offset:50688
	v_fma_f64 v[123:124], v[13:14], v[41:42], -v[123:124]
	v_fma_f64 v[41:42], v[15:16], v[41:42], v[43:44]
	ds_load_b128 v[13:16], v100 offset:52992
	ds_load_b128 v[37:40], v100
	v_fma_f64 v[43:44], v[17:18], v[45:46], -v[127:128]
	v_fma_f64 v[45:46], v[19:20], v[45:46], v[47:48]
	s_wait_loadcnt_dscnt 0x504
	v_mul_f64_e32 v[17:18], v[31:32], v[59:60]
	v_mul_f64_e32 v[19:20], v[29:30], v[59:60]
	s_wait_loadcnt_dscnt 0x403
	v_mul_f64_e32 v[47:48], v[35:36], v[72:73]
	v_mul_f64_e32 v[59:60], v[33:34], v[72:73]
	v_fma_f64 v[72:73], v[21:22], v[49:50], -v[131:132]
	v_fma_f64 v[49:50], v[23:24], v[49:50], v[51:52]
	s_wait_loadcnt_dscnt 0x302
	v_mul_f64_e32 v[21:22], v[11:12], v[76:77]
	v_mul_f64_e32 v[23:24], v[9:10], v[76:77]
	s_wait_loadcnt 0x2
	v_mul_f64_e32 v[51:52], v[111:112], v[80:81]
	v_mul_f64_e32 v[76:77], v[109:110], v[80:81]
	v_fma_f64 v[25:26], v[25:26], v[53:54], -v[137:138]
	v_fma_f64 v[27:28], v[27:28], v[53:54], v[55:56]
	s_wait_loadcnt 0x1
	v_mul_f64_e32 v[53:54], v[119:120], v[84:85]
	v_mul_f64_e32 v[55:56], v[117:118], v[84:85]
	s_wait_loadcnt_dscnt 0x1
	v_mul_f64_e32 v[80:81], v[15:16], v[88:89]
	v_mul_f64_e32 v[84:85], v[13:14], v[88:89]
	s_wait_dscnt 0x0
	v_add_f64_e64 v[61:62], v[37:38], -v[61:62]
	v_add_f64_e64 v[88:89], v[115:116], -v[125:126]
	;; [unrolled: 1-line block ×3, first 2 shown]
	v_fma_f64 v[29:30], v[29:30], v[57:58], -v[17:18]
	v_fma_f64 v[31:32], v[31:32], v[57:58], v[19:20]
	v_fma_f64 v[33:34], v[33:34], v[70:71], -v[47:48]
	v_fma_f64 v[35:36], v[35:36], v[70:71], v[59:60]
	;; [unrolled: 2-line block ×4, first 2 shown]
	ds_load_b128 v[9:12], v100 offset:2304
	v_add_f64_e64 v[76:77], v[39:40], -v[94:95]
	v_fma_f64 v[53:54], v[117:118], v[82:83], -v[53:54]
	v_fma_f64 v[55:56], v[119:120], v[82:83], v[55:56]
	v_fma_f64 v[70:71], v[13:14], v[86:87], -v[80:81]
	v_fma_f64 v[74:75], v[15:16], v[86:87], v[84:85]
	ds_load_b128 v[13:16], v100 offset:4608
	ds_load_b128 v[17:20], v100 offset:6912
	;; [unrolled: 1-line block ×3, first 2 shown]
	v_add_f64_e64 v[78:79], v[6:7], -v[98:99]
	v_add_f64_e64 v[80:81], v[90:91], -v[101:102]
	v_add_f64_e64 v[86:87], v[113:114], -v[96:97]
	v_add_f64_e64 v[96:97], v[103:104], -v[123:124]
	global_wb scope:SCOPE_SE
	s_wait_dscnt 0x0
	s_barrier_signal -1
	s_barrier_wait -1
	global_inv scope:SCOPE_SE
	v_add_f64_e64 v[82:83], v[9:10], -v[92:93]
	v_add_f64_e64 v[84:85], v[11:12], -v[121:122]
	;; [unrolled: 1-line block ×10, first 2 shown]
	v_fma_f64 v[33:34], v[115:116], 2.0, -v[88:89]
	v_add_f64_e64 v[117:118], v[29:30], -v[47:48]
	v_add_f64_e64 v[47:48], v[31:32], -v[57:58]
	v_fma_f64 v[123:124], v[39:40], 2.0, -v[76:77]
	v_add_f64_e64 v[119:120], v[105:106], -v[53:54]
	v_add_f64_e64 v[121:122], v[107:108], -v[55:56]
	;; [unrolled: 1-line block ×4, first 2 shown]
	v_fma_f64 v[74:75], v[37:38], 2.0, -v[61:62]
	v_fma_f64 v[6:7], v[6:7], 2.0, -v[78:79]
	;; [unrolled: 1-line block ×8, first 2 shown]
	v_add_f64_e64 v[9:10], v[61:62], -v[80:81]
	v_add_f64_e32 v[11:12], v[76:77], v[78:79]
	v_fma_f64 v[113:114], v[13:14], 2.0, -v[92:93]
	v_fma_f64 v[115:116], v[15:16], 2.0, -v[94:95]
	;; [unrolled: 1-line block ×8, first 2 shown]
	v_add_f64_e64 v[13:14], v[82:83], -v[88:89]
	v_add_f64_e32 v[15:16], v[84:85], v[86:87]
	v_fma_f64 v[45:46], v[29:30], 2.0, -v[117:118]
	v_fma_f64 v[55:56], v[31:32], 2.0, -v[47:48]
	;; [unrolled: 1-line block ×6, first 2 shown]
	v_add_f64_e64 v[17:18], v[74:75], -v[6:7]
	v_add_f64_e64 v[19:20], v[123:124], -v[25:26]
	;; [unrolled: 1-line block ×4, first 2 shown]
	s_wait_alu 0xf1ff
	v_cndmask_b32_e64 v6, 0, 0x3600, s0
	s_delay_alu instid0(VALU_DEP_1)
	v_add3_u32 v0, 0, v6, v0
	v_add_nc_u32_e32 v6, 0x5100, v5
	v_add_f64_e64 v[21:22], v[90:91], -v[27:28]
	v_add_f64_e64 v[23:24], v[125:126], -v[33:34]
	v_add_f64_e32 v[27:28], v[94:95], v[96:97]
	v_add_f64_e64 v[33:34], v[98:99], -v[72:73]
	v_add_f64_e64 v[29:30], v[113:114], -v[35:36]
	;; [unrolled: 1-line block ×3, first 2 shown]
	v_add_f64_e32 v[35:36], v[101:102], v[49:50]
	v_add_f64_e64 v[49:50], v[119:120], -v[53:54]
	v_add_f64_e64 v[37:38], v[103:104], -v[39:40]
	;; [unrolled: 1-line block ×3, first 2 shown]
	v_add_f64_e32 v[43:44], v[111:112], v[117:118]
	v_fma_f64 v[70:71], v[82:83], 2.0, -v[13:14]
	v_fma_f64 v[72:73], v[84:85], 2.0, -v[15:16]
	v_add_f64_e64 v[45:46], v[129:130], -v[45:46]
	v_add_f64_e64 v[47:48], v[131:132], -v[55:56]
	;; [unrolled: 1-line block ×4, first 2 shown]
	v_add_f64_e32 v[51:52], v[121:122], v[57:58]
	v_fma_f64 v[57:58], v[61:62], 2.0, -v[9:10]
	v_fma_f64 v[59:60], v[76:77], 2.0, -v[11:12]
	;; [unrolled: 1-line block ×22, first 2 shown]
	ds_store_b128 v100, v[9:12] offset:10368
	ds_store_b128 v100, v[17:20] offset:6912
	;; [unrolled: 1-line block ×3, first 2 shown]
	ds_store_b128 v100, v[74:77]
	ds_store_b128 v0, v[78:81]
	ds_store_b128 v0, v[70:73] offset:3456
	ds_store_b128 v0, v[21:24] offset:6912
	;; [unrolled: 1-line block ×11, first 2 shown]
	ds_store_b128 v3, v[105:108]
	ds_store_b128 v3, v[101:104] offset:3456
	ds_store_b128 v3, v[45:48] offset:6912
	;; [unrolled: 1-line block ×7, first 2 shown]
	global_wb scope:SCOPE_SE
	s_wait_dscnt 0x0
	s_barrier_signal -1
	s_barrier_wait -1
	global_inv scope:SCOPE_SE
	s_clause 0xc
	global_load_b128 v[0:3], v8, s[8:9] offset:13728
	global_load_b128 v[9:12], v8, s[8:9] offset:13744
	;; [unrolled: 1-line block ×13, first 2 shown]
	v_add_nc_u32_e32 v5, 0x6c00, v5
	s_clause 0x4
	global_load_b128 v[57:60], v6, s[8:9] offset:13760
	global_load_b128 v[70:73], v5, s[8:9] offset:13728
	;; [unrolled: 1-line block ×5, first 2 shown]
	ds_load_b128 v[82:85], v100 offset:13824
	ds_load_b128 v[86:89], v100 offset:27648
	;; [unrolled: 1-line block ×10, first 2 shown]
	s_wait_loadcnt_dscnt 0xf07
	v_mul_f64_e32 v[125:126], v[92:93], v[15:16]
	v_mul_f64_e32 v[15:16], v[90:91], v[15:16]
	s_wait_loadcnt_dscnt 0xe05
	v_mul_f64_e32 v[127:128], v[103:104], v[19:20]
	v_mul_f64_e32 v[19:20], v[101:102], v[19:20]
	;; [unrolled: 3-line block ×3, first 2 shown]
	v_mul_f64_e32 v[2:3], v[82:83], v[2:3]
	v_mul_f64_e32 v[98:99], v[88:89], v[11:12]
	;; [unrolled: 1-line block ×6, first 2 shown]
	v_fma_f64 v[90:91], v[90:91], v[13:14], -v[125:126]
	v_fma_f64 v[92:93], v[92:93], v[13:14], v[15:16]
	v_fma_f64 v[113:114], v[113:114], v[25:26], -v[131:132]
	v_fma_f64 v[61:62], v[82:83], v[0:1], -v[61:62]
	v_fma_f64 v[133:134], v[84:85], v[0:1], v[2:3]
	v_fma_f64 v[86:87], v[86:87], v[9:10], -v[98:99]
	v_fma_f64 v[88:89], v[88:89], v[9:10], v[11:12]
	ds_load_b128 v[0:3], v100 offset:20736
	ds_load_b128 v[9:12], v100 offset:34560
	s_wait_loadcnt_dscnt 0xb03
	v_mul_f64_e32 v[82:83], v[119:120], v[31:32]
	v_mul_f64_e32 v[31:32], v[117:118], v[31:32]
	ds_load_b128 v[13:16], v100 offset:48384
	s_wait_loadcnt_dscnt 0xa03
	v_mul_f64_e32 v[84:85], v[123:124], v[35:36]
	v_mul_f64_e32 v[35:36], v[121:122], v[35:36]
	v_fma_f64 v[98:99], v[101:102], v[17:18], -v[127:128]
	v_fma_f64 v[101:102], v[103:104], v[17:18], v[19:20]
	ds_load_b128 v[17:20], v100 offset:23040
	v_fma_f64 v[115:116], v[115:116], v[25:26], v[27:28]
	ds_load_b128 v[25:28], v100 offset:50688
	v_fma_f64 v[109:110], v[109:110], v[21:22], -v[129:130]
	v_fma_f64 v[111:112], v[111:112], v[21:22], v[23:24]
	ds_load_b128 v[21:24], v100 offset:36864
	s_wait_loadcnt_dscnt 0x905
	v_mul_f64_e32 v[103:104], v[2:3], v[39:40]
	v_mul_f64_e32 v[39:40], v[0:1], v[39:40]
	s_wait_loadcnt_dscnt 0x804
	v_mul_f64_e32 v[125:126], v[11:12], v[43:44]
	v_mul_f64_e32 v[43:44], v[9:10], v[43:44]
	s_wait_loadcnt_dscnt 0x703
	v_mul_f64_e32 v[127:128], v[15:16], v[47:48]
	v_mul_f64_e32 v[47:48], v[13:14], v[47:48]
	s_wait_loadcnt_dscnt 0x602
	v_mul_f64_e32 v[129:130], v[19:20], v[51:52]
	v_mul_f64_e32 v[51:52], v[17:18], v[51:52]
	s_wait_loadcnt_dscnt 0x401
	v_mul_f64_e32 v[131:132], v[27:28], v[59:60]
	v_fma_f64 v[117:118], v[117:118], v[29:30], -v[82:83]
	v_fma_f64 v[119:120], v[119:120], v[29:30], v[31:32]
	ds_load_b128 v[29:32], v100 offset:39168
	v_fma_f64 v[121:122], v[121:122], v[33:34], -v[84:85]
	v_fma_f64 v[123:124], v[123:124], v[33:34], v[35:36]
	ds_load_b128 v[33:36], v100 offset:52992
	ds_load_b128 v[82:85], v100 offset:41472
	v_fma_f64 v[103:104], v[0:1], v[37:38], -v[103:104]
	v_fma_f64 v[37:38], v[2:3], v[37:38], v[39:40]
	s_wait_dscnt 0x3
	v_mul_f64_e32 v[39:40], v[23:24], v[55:56]
	v_mul_f64_e32 v[55:56], v[21:22], v[55:56]
	v_fma_f64 v[125:126], v[9:10], v[41:42], -v[125:126]
	v_fma_f64 v[41:42], v[11:12], v[41:42], v[43:44]
	v_mul_f64_e32 v[43:44], v[25:26], v[59:60]
	s_wait_loadcnt 0x3
	v_mul_f64_e32 v[59:60], v[107:108], v[72:73]
	v_mul_f64_e32 v[72:73], v[105:106], v[72:73]
	s_wait_loadcnt_dscnt 0x202
	v_mul_f64_e32 v[135:136], v[31:32], v[76:77]
	v_fma_f64 v[127:128], v[13:14], v[45:46], -v[127:128]
	v_fma_f64 v[45:46], v[15:16], v[45:46], v[47:48]
	v_mul_f64_e32 v[15:16], v[29:30], v[76:77]
	s_wait_loadcnt_dscnt 0x101
	v_mul_f64_e32 v[47:48], v[35:36], v[80:81]
	v_mul_f64_e32 v[76:77], v[33:34], v[80:81]
	s_wait_loadcnt_dscnt 0x0
	v_mul_f64_e32 v[80:81], v[84:85], v[7:8]
	v_fma_f64 v[129:130], v[17:18], v[49:50], -v[129:130]
	v_fma_f64 v[49:50], v[19:20], v[49:50], v[51:52]
	v_mul_f64_e32 v[19:20], v[82:83], v[7:8]
	v_fma_f64 v[25:26], v[25:26], v[57:58], -v[131:132]
	ds_load_b128 v[0:3], v100
	ds_load_b128 v[7:10], v100 offset:2304
	ds_load_b128 v[11:14], v100 offset:4608
	v_fma_f64 v[39:40], v[21:22], v[53:54], -v[39:40]
	v_fma_f64 v[23:24], v[23:24], v[53:54], v[55:56]
	s_wait_dscnt 0x1
	v_add_f64_e64 v[53:54], v[7:8], -v[98:99]
	v_add_f64_e64 v[55:56], v[9:10], -v[101:102]
	v_fma_f64 v[27:28], v[27:28], v[57:58], v[43:44]
	v_fma_f64 v[43:44], v[105:106], v[70:71], -v[59:60]
	v_fma_f64 v[51:52], v[107:108], v[70:71], v[72:73]
	v_fma_f64 v[29:30], v[29:30], v[74:75], -v[135:136]
	s_wait_dscnt 0x0
	v_add_f64_e64 v[57:58], v[11:12], -v[117:118]
	v_add_f64_e64 v[59:60], v[13:14], -v[119:120]
	v_fma_f64 v[31:32], v[31:32], v[74:75], v[15:16]
	v_fma_f64 v[33:34], v[33:34], v[78:79], -v[47:48]
	v_fma_f64 v[35:36], v[35:36], v[78:79], v[76:77]
	v_fma_f64 v[47:48], v[82:83], v[5:6], -v[80:81]
	ds_load_b128 v[15:18], v100 offset:6912
	v_add_f64_e64 v[78:79], v[92:93], -v[111:112]
	v_fma_f64 v[5:6], v[84:85], v[5:6], v[19:20]
	ds_load_b128 v[19:22], v100 offset:9216
	v_add_f64_e64 v[80:81], v[113:114], -v[121:122]
	v_add_f64_e64 v[82:83], v[115:116], -v[123:124]
	;; [unrolled: 1-line block ×6, first 2 shown]
	global_wb scope:SCOPE_SE
	s_wait_dscnt 0x0
	s_barrier_signal -1
	s_barrier_wait -1
	global_inv scope:SCOPE_SE
	v_add_f64_e64 v[72:73], v[17:18], -v[41:42]
	v_add_f64_e64 v[41:42], v[90:91], -v[109:110]
	;; [unrolled: 1-line block ×6, first 2 shown]
	v_fma_f64 v[105:106], v[7:8], 2.0, -v[53:54]
	v_add_f64_e64 v[25:26], v[49:50], -v[27:28]
	v_fma_f64 v[107:108], v[9:10], 2.0, -v[55:56]
	v_add_f64_e64 v[98:99], v[94:95], -v[29:30]
	v_fma_f64 v[109:110], v[11:12], 2.0, -v[57:58]
	v_fma_f64 v[111:112], v[13:14], 2.0, -v[59:60]
	v_add_f64_e64 v[101:102], v[96:97], -v[31:32]
	v_add_f64_e64 v[27:28], v[43:44], -v[33:34]
	;; [unrolled: 1-line block ×4, first 2 shown]
	v_fma_f64 v[39:40], v[92:93], 2.0, -v[78:79]
	v_add_f64_e64 v[33:34], v[133:134], -v[5:6]
	v_fma_f64 v[47:48], v[113:114], 2.0, -v[80:81]
	v_add_f64_e64 v[5:6], v[57:58], -v[82:83]
	v_fma_f64 v[92:93], v[103:104], 2.0, -v[84:85]
	v_fma_f64 v[37:38], v[37:38], 2.0, -v[45:46]
	;; [unrolled: 1-line block ×4, first 2 shown]
	v_add_f64_e64 v[0:1], v[53:54], -v[78:79]
	v_add_f64_e32 v[7:8], v[59:60], v[80:81]
	v_fma_f64 v[119:120], v[17:18], 2.0, -v[72:73]
	v_fma_f64 v[35:36], v[90:91], 2.0, -v[41:42]
	v_fma_f64 v[90:91], v[115:116], 2.0, -v[82:83]
	v_fma_f64 v[117:118], v[15:16], 2.0, -v[70:71]
	v_fma_f64 v[103:104], v[19:20], 2.0, -v[86:87]
	v_fma_f64 v[113:114], v[21:22], 2.0, -v[88:89]
	v_fma_f64 v[115:116], v[129:130], 2.0, -v[23:24]
	v_add_f64_e32 v[2:3], v[55:56], v[41:42]
	v_fma_f64 v[49:50], v[49:50], 2.0, -v[25:26]
	v_add_f64_e64 v[9:10], v[70:71], -v[45:46]
	v_add_f64_e32 v[11:12], v[72:73], v[84:85]
	v_fma_f64 v[125:126], v[94:95], 2.0, -v[98:99]
	v_add_f64_e64 v[17:18], v[86:87], -v[25:26]
	v_add_f64_e32 v[19:20], v[88:89], v[23:24]
	v_fma_f64 v[127:128], v[96:97], 2.0, -v[101:102]
	v_fma_f64 v[43:44], v[43:44], 2.0, -v[27:28]
	;; [unrolled: 1-line block ×4, first 2 shown]
	v_add_f64_e32 v[15:16], v[76:77], v[31:32]
	v_add_f64_e64 v[21:22], v[98:99], -v[29:30]
	v_fma_f64 v[94:95], v[133:134], 2.0, -v[33:34]
	v_add_f64_e64 v[13:14], v[74:75], -v[33:34]
	v_add_f64_e32 v[23:24], v[101:102], v[27:28]
	v_add_f64_e64 v[27:28], v[107:108], -v[39:40]
	v_add_f64_e64 v[29:30], v[109:110], -v[47:48]
	;; [unrolled: 1-line block ×8, first 2 shown]
	v_fma_f64 v[49:50], v[53:54], 2.0, -v[0:1]
	v_fma_f64 v[53:54], v[57:58], 2.0, -v[5:6]
	;; [unrolled: 1-line block ×3, first 2 shown]
	v_add_f64_e64 v[41:42], v[125:126], -v[43:44]
	v_add_f64_e64 v[43:44], v[127:128], -v[51:52]
	;; [unrolled: 1-line block ×3, first 2 shown]
	v_fma_f64 v[51:52], v[55:56], 2.0, -v[2:3]
	v_fma_f64 v[55:56], v[59:60], 2.0, -v[7:8]
	v_add_f64_e64 v[47:48], v[123:124], -v[94:95]
	v_fma_f64 v[59:60], v[72:73], 2.0, -v[11:12]
	v_fma_f64 v[70:71], v[74:75], 2.0, -v[13:14]
	;; [unrolled: 1-line block ×19, first 2 shown]
	ds_store_b128 v100, v[0:3] offset:43776
	ds_store_b128 v100, v[5:8] offset:46080
	;; [unrolled: 1-line block ×23, first 2 shown]
	ds_store_b128 v100, v[105:108]
	global_wb scope:SCOPE_SE
	s_wait_dscnt 0x0
	s_barrier_signal -1
	s_barrier_wait -1
	global_inv scope:SCOPE_SE
	s_and_saveexec_b32 s0, vcc_lo
	s_cbranch_execz .LBB0_21
; %bb.20:
	v_mul_lo_u32 v2, s3, v68
	v_mul_lo_u32 v3, s2, v69
	v_mad_co_u64_u32 v[0:1], null, s2, v68, 0
	v_mov_b32_e32 v65, v4
	v_lshlrev_b64_e32 v[13:14], 4, v[66:67]
	s_delay_alu instid0(VALU_DEP_2) | instskip(NEXT) | instid1(VALU_DEP_4)
	v_lshlrev_b64_e32 v[15:16], 4, v[64:65]
	v_add3_u32 v1, v1, v3, v2
	v_lshl_add_u32 v2, v64, 4, 0
	v_add_nc_u32_e32 v3, 0x90, v64
	s_delay_alu instid0(VALU_DEP_3)
	v_lshlrev_b64_e32 v[0:1], 4, v[0:1]
	ds_load_b128 v[5:8], v2
	ds_load_b128 v[9:12], v2 offset:2304
	v_add_co_u32 v17, vcc_lo, s6, v0
	s_wait_alu 0xfffd
	v_add_co_ci_u32_e32 v18, vcc_lo, s7, v1, vcc_lo
	v_lshlrev_b64_e32 v[0:1], 4, v[3:4]
	s_delay_alu instid0(VALU_DEP_3) | instskip(SKIP_1) | instid1(VALU_DEP_3)
	v_add_co_u32 v37, vcc_lo, v17, v13
	s_wait_alu 0xfffd
	v_add_co_ci_u32_e32 v38, vcc_lo, v18, v14, vcc_lo
	v_add_nc_u32_e32 v3, 0x120, v64
	s_delay_alu instid0(VALU_DEP_3) | instskip(SKIP_1) | instid1(VALU_DEP_3)
	v_add_co_u32 v21, vcc_lo, v37, v15
	s_wait_alu 0xfffd
	v_add_co_ci_u32_e32 v22, vcc_lo, v38, v16, vcc_lo
	v_add_co_u32 v0, vcc_lo, v37, v0
	v_lshlrev_b64_e32 v[23:24], 4, v[3:4]
	v_add_nc_u32_e32 v3, 0x1b0, v64
	s_wait_alu 0xfffd
	v_add_co_ci_u32_e32 v1, vcc_lo, v38, v1, vcc_lo
	ds_load_b128 v[13:16], v2 offset:4608
	ds_load_b128 v[17:20], v2 offset:52992
	s_wait_dscnt 0x3
	global_store_b128 v[21:22], v[5:8], off
	s_wait_dscnt 0x2
	global_store_b128 v[0:1], v[9:12], off
	v_lshlrev_b64_e32 v[0:1], 4, v[3:4]
	v_add_nc_u32_e32 v3, 0x240, v64
	v_add_co_u32 v25, vcc_lo, v37, v23
	ds_load_b128 v[5:8], v2 offset:6912
	ds_load_b128 v[9:12], v2 offset:9216
	s_wait_alu 0xfffd
	v_add_co_ci_u32_e32 v26, vcc_lo, v38, v24, vcc_lo
	ds_load_b128 v[21:24], v2 offset:11520
	v_lshlrev_b64_e32 v[27:28], 4, v[3:4]
	v_add_nc_u32_e32 v3, 0x2d0, v64
	v_add_co_u32 v0, vcc_lo, v37, v0
	s_wait_alu 0xfffd
	v_add_co_ci_u32_e32 v1, vcc_lo, v38, v1, vcc_lo
	s_delay_alu instid0(VALU_DEP_3) | instskip(SKIP_4) | instid1(VALU_DEP_4)
	v_lshlrev_b64_e32 v[29:30], 4, v[3:4]
	v_add_nc_u32_e32 v3, 0x360, v64
	v_add_co_u32 v27, vcc_lo, v37, v27
	s_wait_alu 0xfffd
	v_add_co_ci_u32_e32 v28, vcc_lo, v38, v28, vcc_lo
	v_add_co_u32 v29, vcc_lo, v37, v29
	v_lshlrev_b64_e32 v[31:32], 4, v[3:4]
	v_add_nc_u32_e32 v3, 0x3f0, v64
	s_wait_alu 0xfffd
	v_add_co_ci_u32_e32 v30, vcc_lo, v38, v30, vcc_lo
	s_wait_dscnt 0x4
	global_store_b128 v[25:26], v[13:16], off
	s_wait_dscnt 0x2
	global_store_b128 v[0:1], v[5:8], off
	ds_load_b128 v[5:8], v2 offset:13824
	v_lshlrev_b64_e32 v[0:1], 4, v[3:4]
	v_add_nc_u32_e32 v3, 0x480, v64
	s_wait_dscnt 0x2
	global_store_b128 v[27:28], v[9:12], off
	s_wait_dscnt 0x1
	global_store_b128 v[29:30], v[21:24], off
	ds_load_b128 v[9:12], v2 offset:16128
	ds_load_b128 v[13:16], v2 offset:18432
	ds_load_b128 v[21:24], v2 offset:20736
	v_add_co_u32 v25, vcc_lo, v37, v31
	v_lshlrev_b64_e32 v[27:28], 4, v[3:4]
	v_add_nc_u32_e32 v3, 0x510, v64
	s_wait_alu 0xfffd
	v_add_co_ci_u32_e32 v26, vcc_lo, v38, v32, vcc_lo
	v_add_co_u32 v0, vcc_lo, v37, v0
	s_delay_alu instid0(VALU_DEP_3)
	v_lshlrev_b64_e32 v[29:30], 4, v[3:4]
	v_add_nc_u32_e32 v3, 0x5a0, v64
	s_wait_alu 0xfffd
	v_add_co_ci_u32_e32 v1, vcc_lo, v38, v1, vcc_lo
	v_add_co_u32 v27, vcc_lo, v37, v27
	s_wait_alu 0xfffd
	v_add_co_ci_u32_e32 v28, vcc_lo, v38, v28, vcc_lo
	v_add_co_u32 v29, vcc_lo, v37, v29
	v_lshlrev_b64_e32 v[31:32], 4, v[3:4]
	v_add_nc_u32_e32 v3, 0x630, v64
	s_wait_alu 0xfffd
	v_add_co_ci_u32_e32 v30, vcc_lo, v38, v30, vcc_lo
	s_wait_dscnt 0x3
	global_store_b128 v[25:26], v[5:8], off
	s_wait_dscnt 0x2
	global_store_b128 v[0:1], v[9:12], off
	ds_load_b128 v[5:8], v2 offset:23040
	v_lshlrev_b64_e32 v[0:1], 4, v[3:4]
	v_add_nc_u32_e32 v3, 0x6c0, v64
	s_wait_dscnt 0x2
	global_store_b128 v[27:28], v[13:16], off
	s_wait_dscnt 0x1
	global_store_b128 v[29:30], v[21:24], off
	ds_load_b128 v[9:12], v2 offset:25344
	ds_load_b128 v[13:16], v2 offset:27648
	;; [unrolled: 1-line block ×3, first 2 shown]
	v_add_co_u32 v25, vcc_lo, v37, v31
	v_lshlrev_b64_e32 v[27:28], 4, v[3:4]
	v_add_nc_u32_e32 v3, 0x750, v64
	s_wait_alu 0xfffd
	v_add_co_ci_u32_e32 v26, vcc_lo, v38, v32, vcc_lo
	v_add_co_u32 v0, vcc_lo, v37, v0
	s_delay_alu instid0(VALU_DEP_3)
	v_lshlrev_b64_e32 v[29:30], 4, v[3:4]
	s_wait_alu 0xfffd
	v_add_co_ci_u32_e32 v1, vcc_lo, v38, v1, vcc_lo
	v_add_nc_u32_e32 v3, 0x7e0, v64
	v_add_co_u32 v27, vcc_lo, v37, v27
	s_wait_alu 0xfffd
	v_add_co_ci_u32_e32 v28, vcc_lo, v38, v28, vcc_lo
	v_add_co_u32 v29, vcc_lo, v37, v29
	v_lshlrev_b64_e32 v[31:32], 4, v[3:4]
	v_add_nc_u32_e32 v3, 0x870, v64
	s_wait_alu 0xfffd
	v_add_co_ci_u32_e32 v30, vcc_lo, v38, v30, vcc_lo
	s_wait_dscnt 0x3
	global_store_b128 v[25:26], v[5:8], off
	s_wait_dscnt 0x2
	global_store_b128 v[0:1], v[9:12], off
	ds_load_b128 v[5:8], v2 offset:32256
	s_wait_dscnt 0x2
	global_store_b128 v[27:28], v[13:16], off
	s_wait_dscnt 0x1
	global_store_b128 v[29:30], v[21:24], off
	v_lshlrev_b64_e32 v[0:1], 4, v[3:4]
	v_add_nc_u32_e32 v3, 0x900, v64
	ds_load_b128 v[9:12], v2 offset:34560
	ds_load_b128 v[13:16], v2 offset:36864
	;; [unrolled: 1-line block ×3, first 2 shown]
	v_add_co_u32 v25, vcc_lo, v37, v31
	v_lshlrev_b64_e32 v[27:28], 4, v[3:4]
	v_add_nc_u32_e32 v3, 0x990, v64
	s_wait_alu 0xfffd
	v_add_co_ci_u32_e32 v26, vcc_lo, v38, v32, vcc_lo
	v_add_co_u32 v0, vcc_lo, v37, v0
	s_delay_alu instid0(VALU_DEP_3) | instskip(SKIP_4) | instid1(VALU_DEP_3)
	v_lshlrev_b64_e32 v[29:30], 4, v[3:4]
	v_add_nc_u32_e32 v3, 0xa20, v64
	s_wait_alu 0xfffd
	v_add_co_ci_u32_e32 v1, vcc_lo, v38, v1, vcc_lo
	v_add_co_u32 v27, vcc_lo, v37, v27
	v_lshlrev_b64_e32 v[31:32], 4, v[3:4]
	v_add_nc_u32_e32 v3, 0xab0, v64
	s_wait_alu 0xfffd
	v_add_co_ci_u32_e32 v28, vcc_lo, v38, v28, vcc_lo
	v_add_co_u32 v29, vcc_lo, v37, v29
	s_wait_dscnt 0x3
	global_store_b128 v[25:26], v[5:8], off
	s_wait_dscnt 0x2
	global_store_b128 v[0:1], v[9:12], off
	v_lshlrev_b64_e32 v[0:1], 4, v[3:4]
	v_add_nc_u32_e32 v3, 0xb40, v64
	s_wait_alu 0xfffd
	v_add_co_ci_u32_e32 v30, vcc_lo, v38, v30, vcc_lo
	ds_load_b128 v[5:8], v2 offset:41472
	s_wait_dscnt 0x2
	global_store_b128 v[27:28], v[13:16], off
	s_wait_dscnt 0x1
	global_store_b128 v[29:30], v[21:24], off
	v_add_co_u32 v29, vcc_lo, v37, v31
	v_lshlrev_b64_e32 v[21:22], 4, v[3:4]
	s_wait_alu 0xfffd
	v_add_co_ci_u32_e32 v30, vcc_lo, v38, v32, vcc_lo
	v_add_co_u32 v0, vcc_lo, v37, v0
	v_add_nc_u32_e32 v3, 0xbd0, v64
	s_wait_alu 0xfffd
	v_add_co_ci_u32_e32 v1, vcc_lo, v38, v1, vcc_lo
	v_add_co_u32 v33, vcc_lo, v37, v21
	ds_load_b128 v[9:12], v2 offset:43776
	ds_load_b128 v[13:16], v2 offset:46080
	s_wait_alu 0xfffd
	v_add_co_ci_u32_e32 v34, vcc_lo, v38, v22, vcc_lo
	ds_load_b128 v[21:24], v2 offset:48384
	ds_load_b128 v[25:28], v2 offset:50688
	v_lshlrev_b64_e32 v[31:32], 4, v[3:4]
	v_add_nc_u32_e32 v3, 0xc60, v64
	s_delay_alu instid0(VALU_DEP_1) | instskip(SKIP_1) | instid1(VALU_DEP_4)
	v_lshlrev_b64_e32 v[35:36], 4, v[3:4]
	v_add_nc_u32_e32 v3, 0xcf0, v64
	v_add_co_u32 v31, vcc_lo, v37, v31
	s_wait_alu 0xfffd
	v_add_co_ci_u32_e32 v32, vcc_lo, v38, v32, vcc_lo
	s_delay_alu instid0(VALU_DEP_3) | instskip(SKIP_3) | instid1(VALU_DEP_3)
	v_lshlrev_b64_e32 v[2:3], 4, v[3:4]
	v_add_co_u32 v35, vcc_lo, v37, v35
	s_wait_alu 0xfffd
	v_add_co_ci_u32_e32 v36, vcc_lo, v38, v36, vcc_lo
	v_add_co_u32 v2, vcc_lo, v37, v2
	s_wait_alu 0xfffd
	v_add_co_ci_u32_e32 v3, vcc_lo, v38, v3, vcc_lo
	s_wait_dscnt 0x4
	global_store_b128 v[29:30], v[5:8], off
	s_wait_dscnt 0x3
	global_store_b128 v[0:1], v[9:12], off
	;; [unrolled: 2-line block ×4, first 2 shown]
	s_wait_dscnt 0x0
	s_clause 0x1
	global_store_b128 v[35:36], v[25:28], off
	global_store_b128 v[2:3], v[17:20], off
.LBB0_21:
	s_nop 0
	s_sendmsg sendmsg(MSG_DEALLOC_VGPRS)
	s_endpgm
	.section	.rodata,"a",@progbits
	.p2align	6, 0x0
	.amdhsa_kernel fft_rtc_fwd_len3456_factors_6_6_6_4_4_wgs_144_tpt_144_halfLds_dp_op_CI_CI_unitstride_sbrr_C2R_dirReg
		.amdhsa_group_segment_fixed_size 0
		.amdhsa_private_segment_fixed_size 0
		.amdhsa_kernarg_size 104
		.amdhsa_user_sgpr_count 2
		.amdhsa_user_sgpr_dispatch_ptr 0
		.amdhsa_user_sgpr_queue_ptr 0
		.amdhsa_user_sgpr_kernarg_segment_ptr 1
		.amdhsa_user_sgpr_dispatch_id 0
		.amdhsa_user_sgpr_private_segment_size 0
		.amdhsa_wavefront_size32 1
		.amdhsa_uses_dynamic_stack 0
		.amdhsa_enable_private_segment 0
		.amdhsa_system_sgpr_workgroup_id_x 1
		.amdhsa_system_sgpr_workgroup_id_y 0
		.amdhsa_system_sgpr_workgroup_id_z 0
		.amdhsa_system_sgpr_workgroup_info 0
		.amdhsa_system_vgpr_workitem_id 0
		.amdhsa_next_free_vgpr 164
		.amdhsa_next_free_sgpr 39
		.amdhsa_reserve_vcc 1
		.amdhsa_float_round_mode_32 0
		.amdhsa_float_round_mode_16_64 0
		.amdhsa_float_denorm_mode_32 3
		.amdhsa_float_denorm_mode_16_64 3
		.amdhsa_fp16_overflow 0
		.amdhsa_workgroup_processor_mode 1
		.amdhsa_memory_ordered 1
		.amdhsa_forward_progress 0
		.amdhsa_round_robin_scheduling 0
		.amdhsa_exception_fp_ieee_invalid_op 0
		.amdhsa_exception_fp_denorm_src 0
		.amdhsa_exception_fp_ieee_div_zero 0
		.amdhsa_exception_fp_ieee_overflow 0
		.amdhsa_exception_fp_ieee_underflow 0
		.amdhsa_exception_fp_ieee_inexact 0
		.amdhsa_exception_int_div_zero 0
	.end_amdhsa_kernel
	.text
.Lfunc_end0:
	.size	fft_rtc_fwd_len3456_factors_6_6_6_4_4_wgs_144_tpt_144_halfLds_dp_op_CI_CI_unitstride_sbrr_C2R_dirReg, .Lfunc_end0-fft_rtc_fwd_len3456_factors_6_6_6_4_4_wgs_144_tpt_144_halfLds_dp_op_CI_CI_unitstride_sbrr_C2R_dirReg
                                        ; -- End function
	.section	.AMDGPU.csdata,"",@progbits
; Kernel info:
; codeLenInByte = 17248
; NumSgprs: 41
; NumVgprs: 164
; ScratchSize: 0
; MemoryBound: 0
; FloatMode: 240
; IeeeMode: 1
; LDSByteSize: 0 bytes/workgroup (compile time only)
; SGPRBlocks: 5
; VGPRBlocks: 20
; NumSGPRsForWavesPerEU: 41
; NumVGPRsForWavesPerEU: 164
; Occupancy: 9
; WaveLimiterHint : 1
; COMPUTE_PGM_RSRC2:SCRATCH_EN: 0
; COMPUTE_PGM_RSRC2:USER_SGPR: 2
; COMPUTE_PGM_RSRC2:TRAP_HANDLER: 0
; COMPUTE_PGM_RSRC2:TGID_X_EN: 1
; COMPUTE_PGM_RSRC2:TGID_Y_EN: 0
; COMPUTE_PGM_RSRC2:TGID_Z_EN: 0
; COMPUTE_PGM_RSRC2:TIDIG_COMP_CNT: 0
	.text
	.p2alignl 7, 3214868480
	.fill 96, 4, 3214868480
	.type	__hip_cuid_8157d2d856ff8e91,@object ; @__hip_cuid_8157d2d856ff8e91
	.section	.bss,"aw",@nobits
	.globl	__hip_cuid_8157d2d856ff8e91
__hip_cuid_8157d2d856ff8e91:
	.byte	0                               ; 0x0
	.size	__hip_cuid_8157d2d856ff8e91, 1

	.ident	"AMD clang version 19.0.0git (https://github.com/RadeonOpenCompute/llvm-project roc-6.4.0 25133 c7fe45cf4b819c5991fe208aaa96edf142730f1d)"
	.section	".note.GNU-stack","",@progbits
	.addrsig
	.addrsig_sym __hip_cuid_8157d2d856ff8e91
	.amdgpu_metadata
---
amdhsa.kernels:
  - .args:
      - .actual_access:  read_only
        .address_space:  global
        .offset:         0
        .size:           8
        .value_kind:     global_buffer
      - .offset:         8
        .size:           8
        .value_kind:     by_value
      - .actual_access:  read_only
        .address_space:  global
        .offset:         16
        .size:           8
        .value_kind:     global_buffer
      - .actual_access:  read_only
        .address_space:  global
        .offset:         24
        .size:           8
        .value_kind:     global_buffer
      - .actual_access:  read_only
        .address_space:  global
        .offset:         32
        .size:           8
        .value_kind:     global_buffer
      - .offset:         40
        .size:           8
        .value_kind:     by_value
      - .actual_access:  read_only
        .address_space:  global
        .offset:         48
        .size:           8
        .value_kind:     global_buffer
      - .actual_access:  read_only
        .address_space:  global
        .offset:         56
        .size:           8
        .value_kind:     global_buffer
      - .offset:         64
        .size:           4
        .value_kind:     by_value
      - .actual_access:  read_only
        .address_space:  global
        .offset:         72
        .size:           8
        .value_kind:     global_buffer
      - .actual_access:  read_only
        .address_space:  global
        .offset:         80
        .size:           8
        .value_kind:     global_buffer
      - .actual_access:  read_only
        .address_space:  global
        .offset:         88
        .size:           8
        .value_kind:     global_buffer
      - .actual_access:  write_only
        .address_space:  global
        .offset:         96
        .size:           8
        .value_kind:     global_buffer
    .group_segment_fixed_size: 0
    .kernarg_segment_align: 8
    .kernarg_segment_size: 104
    .language:       OpenCL C
    .language_version:
      - 2
      - 0
    .max_flat_workgroup_size: 144
    .name:           fft_rtc_fwd_len3456_factors_6_6_6_4_4_wgs_144_tpt_144_halfLds_dp_op_CI_CI_unitstride_sbrr_C2R_dirReg
    .private_segment_fixed_size: 0
    .sgpr_count:     41
    .sgpr_spill_count: 0
    .symbol:         fft_rtc_fwd_len3456_factors_6_6_6_4_4_wgs_144_tpt_144_halfLds_dp_op_CI_CI_unitstride_sbrr_C2R_dirReg.kd
    .uniform_work_group_size: 1
    .uses_dynamic_stack: false
    .vgpr_count:     164
    .vgpr_spill_count: 0
    .wavefront_size: 32
    .workgroup_processor_mode: 1
amdhsa.target:   amdgcn-amd-amdhsa--gfx1201
amdhsa.version:
  - 1
  - 2
...

	.end_amdgpu_metadata
